;; amdgpu-corpus repo=LLNL/RAJAPerf kind=compiled arch=gfx1250 opt=O3
	.amdgcn_target "amdgcn-amd-amdhsa--gfx1250"
	.amdhsa_code_object_version 6
	.section	.text._ZN8rajaperf4apps8Mass3DEAILm64EEEvPdS2_S2_,"axG",@progbits,_ZN8rajaperf4apps8Mass3DEAILm64EEEvPdS2_S2_,comdat
	.protected	_ZN8rajaperf4apps8Mass3DEAILm64EEEvPdS2_S2_ ; -- Begin function _ZN8rajaperf4apps8Mass3DEAILm64EEEvPdS2_S2_
	.globl	_ZN8rajaperf4apps8Mass3DEAILm64EEEvPdS2_S2_
	.p2align	8
	.type	_ZN8rajaperf4apps8Mass3DEAILm64EEEvPdS2_S2_,@function
_ZN8rajaperf4apps8Mass3DEAILm64EEEvPdS2_S2_: ; @_ZN8rajaperf4apps8Mass3DEAILm64EEEvPdS2_S2_
; %bb.0:
	s_clause 0x1
	s_load_b128 s[4:7], s[0:1], 0x0
	s_load_b64 s[10:11], s[0:1], 0x10
	v_bfe_u32 v58, v0, 20, 10
	v_and_b32_e32 v56, 0x3ff, v0
	v_bfe_u32 v0, v0, 10, 10
	s_mov_b32 s9, 0
	s_delay_alu instid0(VALU_DEP_3)
	v_cmp_eq_u32_e32 vcc_lo, 0, v58
	s_and_saveexec_b32 s2, vcc_lo
	s_cbranch_execz .LBB0_4
; %bb.1:
	s_wait_xcnt 0x0
	v_cmp_gt_u32_e64 s0, 4, v56
	v_cmp_gt_u32_e64 s1, 5, v0
	s_and_b32 s0, s0, s1
	s_delay_alu instid0(SALU_CYCLE_1)
	s_and_b32 exec_lo, exec_lo, s0
	s_cbranch_execz .LBB0_4
; %bb.2:
	v_mul_u32_u24_e32 v4, 40, v56
	v_mov_b32_e32 v5, 0
	v_lshl_add_u32 v1, v56, 3, 0x3f0
	s_mov_b32 s1, exec_lo
	s_wait_kmcnt 0x0
	s_delay_alu instid0(VALU_DEP_2) | instskip(SKIP_2) | instid1(VALU_DEP_2)
	v_add_nc_u64_e32 v[2:3], s[4:5], v[4:5]
	v_lshlrev_b32_e32 v4, 3, v0
	v_lshl_add_u32 v6, v0, 5, v1
	v_add_nc_u64_e32 v[4:5], v[2:3], v[4:5]
	global_load_b64 v[4:5], v[4:5], off
	s_wait_loadcnt 0x0
	ds_store_b64 v6, v[4:5]
	v_cmpx_eq_u32_e32 0, v0
	s_xor_b32 s1, exec_lo, s1
	s_cbranch_execz .LBB0_4
; %bb.3:
	global_load_b64 v[2:3], v[2:3], off offset:32
	s_wait_loadcnt 0x0
	ds_store_b64 v1, v[2:3] offset:128
.LBB0_4:
	s_or_b32 exec_lo, exec_lo, s2
	s_wait_xcnt 0x0
	s_bfe_u32 s0, ttmp6, 0x4000c
	s_and_b32 s1, ttmp6, 15
	s_add_co_i32 s0, s0, 1
	s_getreg_b32 s2, hwreg(HW_REG_IB_STS2, 6, 4)
	s_mul_i32 s0, ttmp9, s0
	v_mov_b32_e32 v57, 0
	s_add_co_i32 s1, s1, s0
	s_cmp_eq_u32 s2, 0
	s_mov_b32 s3, exec_lo
	s_cselect_b32 s8, ttmp9, s1
	v_cmpx_gt_u32_e32 5, v56
	s_cbranch_execz .LBB0_13
; %bb.5:
	v_mov_b64_e32 v[4:5], v[56:57]
	v_dual_mov_b32 v1, v57 :: v_dual_mov_b32 v3, v57
	v_cmp_gt_u32_e64 s0, 5, v0
	v_cmp_gt_u32_e64 s1, 5, v58
	v_mul_u32_u24_e32 v2, 0xc8, v58
	s_wait_kmcnt 0x0
	s_mul_u64 s[4:5], s[8:9], 0x3e8
	s_delay_alu instid0(SALU_CYCLE_1)
	s_add_nc_u64 s[4:5], s[6:7], s[4:5]
	s_mov_b32 s6, 0
	s_branch .LBB0_7
.LBB0_6:                                ;   in Loop: Header=BB0_7 Depth=1
	s_or_b32 exec_lo, exec_lo, s7
	v_cmp_ne_u64_e64 s2, 0, v[4:5]
	v_mov_b64_e32 v[4:5], 4
	s_or_b32 s6, s2, s6
	s_delay_alu instid0(SALU_CYCLE_1)
	s_and_not1_b32 exec_lo, exec_lo, s6
	s_cbranch_execz .LBB0_13
.LBB0_7:                                ; =>This Loop Header: Depth=1
                                        ;     Child Loop BB0_10 Depth 2
	s_and_saveexec_b32 s7, s0
	s_cbranch_execz .LBB0_6
; %bb.8:                                ;   in Loop: Header=BB0_7 Depth=1
	s_delay_alu instid0(VALU_DEP_1)
	v_mul_lo_u32 v12, 0xc8, v4
	v_mov_b64_e32 v[8:9], v[0:1]
	v_lshl_add_u64 v[6:7], v[4:5], 3, s[4:5]
	s_mov_b32 s12, 0
	s_branch .LBB0_10
.LBB0_9:                                ;   in Loop: Header=BB0_10 Depth=2
	s_or_b32 exec_lo, exec_lo, s2
	v_cmp_ne_u64_e64 s2, 0, v[8:9]
	v_mov_b64_e32 v[8:9], 4
	s_or_b32 s12, s2, s12
	s_delay_alu instid0(SALU_CYCLE_1)
	s_and_not1_b32 exec_lo, exec_lo, s12
	s_cbranch_execz .LBB0_6
.LBB0_10:                               ;   Parent Loop BB0_7 Depth=1
                                        ; =>  This Inner Loop Header: Depth=2
	s_and_saveexec_b32 s2, s1
	s_cbranch_execz .LBB0_9
; %bb.11:                               ;   in Loop: Header=BB0_10 Depth=2
	s_delay_alu instid0(VALU_DEP_1) | instskip(SKIP_2) | instid1(VALU_DEP_2)
	v_mul_hi_i32_i24_e32 v11, 40, v8
	v_mul_i32_i24_e32 v10, 40, v8
	v_mad_u32 v13, v8, 40, v12
	v_add_nc_u64_e32 v[10:11], v[6:7], v[10:11]
	s_delay_alu instid0(VALU_DEP_2) | instskip(NEXT) | instid1(VALU_DEP_2)
	v_lshl_add_u32 v16, v58, 3, v13
	v_add_nc_u64_e32 v[14:15], v[10:11], v[2:3]
	global_load_b64 v[14:15], v[14:15], off
	s_wait_loadcnt 0x0
	ds_store_b64 v16, v[14:15]
	s_and_b32 exec_lo, exec_lo, vcc_lo
	s_cbranch_execz .LBB0_9
; %bb.12:                               ;   in Loop: Header=BB0_10 Depth=2
	global_load_b64 v[10:11], v[10:11], off offset:800
	s_wait_loadcnt 0x0
	ds_store_b64 v13, v[10:11] offset:32
	s_branch .LBB0_9
.LBB0_13:
	s_or_b32 exec_lo, exec_lo, s3
	s_wait_dscnt 0x0
	s_barrier_signal -1
	s_barrier_wait -1
	s_mov_b32 s0, exec_lo
	v_cmpx_gt_u32_e32 4, v56
	s_cbranch_execz .LBB0_33
; %bb.14:
	v_or_b32_e32 v1, v0, v58
	s_delay_alu instid0(VALU_DEP_1)
	v_cmp_gt_u32_e32 vcc_lo, 4, v1
	s_and_b32 exec_lo, exec_lo, vcc_lo
	s_cbranch_execz .LBB0_33
; %bb.15:
	v_dual_mov_b32 v61, 0 :: v_dual_lshlrev_b32 v60, 3, v56
	v_dual_lshlrev_b32 v14, 3, v58 :: v_dual_lshlrev_b32 v52, 3, v0
	s_lshl_b64 s[0:1], s[8:9], 15
	v_lshl_add_u32 v76, v56, 3, 0x3f0
	s_wait_kmcnt 0x0
	v_add_nc_u64_e32 v[12:13], s[10:11], v[60:61]
	v_lshlrev_b32_e32 v60, 5, v0
	ds_load_2addr_b64 v[0:3], v14 offset0:134 offset1:138
	ds_load_2addr_b64 v[4:7], v14 offset0:126 offset1:130
	;; [unrolled: 1-line block ×3, first 2 shown]
	ds_load_b64 v[64:65], v14 offset:1136
	ds_load_b64 v[66:67], v52 offset:1136
	s_movk_i32 s6, 0x3f0
	v_add_nc_u64_e32 v[62:63], v[12:13], v[60:61]
	ds_load_b128 v[12:15], v61 offset:1008
	ds_load_b128 v[16:19], v61 offset:1024
	;; [unrolled: 1-line block ×10, first 2 shown]
	ds_load_2addr_b64 v[52:55], v52 offset0:134 offset1:138
	v_lshlrev_b32_e32 v60, 7, v58
	v_add_nc_u64_e32 v[62:63], s[0:1], v[62:63]
	s_mov_b64 s[0:1], 0
	s_delay_alu instid0(VALU_DEP_1)
	v_add_nc_u64_e32 v[68:69], v[62:63], v[60:61]
.LBB0_16:                               ; =>This Loop Header: Depth=1
                                        ;     Child Loop BB0_17 Depth 2
                                        ;       Child Loop BB0_18 Depth 3
                                        ;     Child Loop BB0_21 Depth 2
                                        ;       Child Loop BB0_22 Depth 3
	;; [unrolled: 2-line block ×4, first 2 shown]
	s_lshl_b64 s[2:3], s[0:1], 9
	s_delay_alu instid0(VALU_DEP_1) | instid1(SALU_CYCLE_1)
	v_add_nc_u64_e32 v[70:71], s[2:3], v[68:69]
	s_mov_b64 s[2:3], 0
.LBB0_17:                               ;   Parent Loop BB0_16 Depth=1
                                        ; =>  This Loop Header: Depth=2
                                        ;       Child Loop BB0_18 Depth 3
	s_delay_alu instid0(SALU_CYCLE_1)
	s_lshl_b32 s4, s2, 3
	s_mov_b32 s7, 0
	s_wait_xcnt 0x0
	v_dual_mov_b32 v72, s4 :: v_dual_mov_b32 v77, v76
	s_mov_b64 s[4:5], 5
	s_mov_b32 s8, s6
	ds_load_2addr_b64 v[56:59], v72 offset0:126 offset1:130
	ds_load_2addr_b64 v[60:63], v72 offset0:134 offset1:138
	ds_load_b64 v[74:75], v72 offset:1136
	v_mov_b64_e32 v[72:73], 0
.LBB0_18:                               ;   Parent Loop BB0_16 Depth=1
                                        ;     Parent Loop BB0_17 Depth=2
                                        ; =>    This Inner Loop Header: Depth=3
	v_mov_b32_e32 v80, s8
	ds_load_b64 v[78:79], v77
	s_add_nc_u64 s[4:5], s[4:5], -1
	s_add_co_i32 s8, s8, 32
	v_mov_b32_e32 v88, s7
	ds_load_b64 v[80:81], v80
	s_addk_co_i32 s7, 0xc8
	s_cmp_lg_u64 s[4:5], 0
	v_add_nc_u32_e32 v77, 32, v77
	s_wait_dscnt 0x0
	v_mul_f64_e32 v[82:83], v[78:79], v[80:81]
	s_delay_alu instid0(VALU_DEP_1) | instskip(NEXT) | instid1(VALU_DEP_1)
	v_mul_f64_e32 v[78:79], v[82:83], v[8:9]
	v_mul_f64_e32 v[84:85], v[78:79], v[12:13]
	s_delay_alu instid0(VALU_DEP_1) | instskip(NEXT) | instid1(VALU_DEP_1)
	v_mul_f64_e32 v[78:79], v[84:85], v[4:5]
	v_mul_f64_e32 v[86:87], v[78:79], v[56:57]
	ds_load_2addr_b64 v[78:81], v88 offset1:1
	s_wait_dscnt 0x0
	v_fmac_f64_e32 v[72:73], v[86:87], v[78:79]
	v_mul_f64_e32 v[78:79], v[84:85], v[6:7]
	s_delay_alu instid0(VALU_DEP_1) | instskip(NEXT) | instid1(VALU_DEP_1)
	v_mul_f64_e32 v[78:79], v[78:79], v[58:59]
	v_fmac_f64_e32 v[72:73], v[78:79], v[80:81]
	v_mul_f64_e32 v[78:79], v[84:85], v[0:1]
	s_delay_alu instid0(VALU_DEP_1) | instskip(SKIP_4) | instid1(VALU_DEP_1)
	v_mul_f64_e32 v[86:87], v[78:79], v[60:61]
	ds_load_2addr_b64 v[78:81], v88 offset0:2 offset1:3
	s_wait_dscnt 0x0
	v_fmac_f64_e32 v[72:73], v[86:87], v[78:79]
	v_mul_f64_e32 v[78:79], v[84:85], v[2:3]
	v_mul_f64_e32 v[78:79], v[78:79], v[62:63]
	s_delay_alu instid0(VALU_DEP_1) | instskip(SKIP_1) | instid1(VALU_DEP_1)
	v_fmac_f64_e32 v[72:73], v[78:79], v[80:81]
	v_mul_f64_e32 v[78:79], v[84:85], v[64:65]
	v_mul_f64_e32 v[84:85], v[78:79], v[74:75]
	ds_load_2addr_b64 v[78:81], v88 offset0:4 offset1:5
	s_wait_dscnt 0x0
	v_fmac_f64_e32 v[72:73], v[84:85], v[78:79]
	v_mul_f64_e32 v[78:79], v[82:83], v[10:11]
	s_delay_alu instid0(VALU_DEP_1) | instskip(NEXT) | instid1(VALU_DEP_1)
	v_mul_f64_e32 v[84:85], v[78:79], v[20:21]
	v_mul_f64_e32 v[78:79], v[84:85], v[4:5]
	s_delay_alu instid0(VALU_DEP_1) | instskip(NEXT) | instid1(VALU_DEP_1)
	v_mul_f64_e32 v[78:79], v[78:79], v[56:57]
	v_fmac_f64_e32 v[72:73], v[78:79], v[80:81]
	v_mul_f64_e32 v[78:79], v[84:85], v[6:7]
	s_delay_alu instid0(VALU_DEP_1) | instskip(SKIP_4) | instid1(VALU_DEP_1)
	v_mul_f64_e32 v[86:87], v[78:79], v[58:59]
	ds_load_2addr_b64 v[78:81], v88 offset0:6 offset1:7
	s_wait_dscnt 0x0
	v_fmac_f64_e32 v[72:73], v[86:87], v[78:79]
	v_mul_f64_e32 v[78:79], v[84:85], v[0:1]
	v_mul_f64_e32 v[78:79], v[78:79], v[60:61]
	s_delay_alu instid0(VALU_DEP_1) | instskip(SKIP_1) | instid1(VALU_DEP_1)
	v_fmac_f64_e32 v[72:73], v[78:79], v[80:81]
	v_mul_f64_e32 v[78:79], v[84:85], v[2:3]
	v_mul_f64_e32 v[86:87], v[78:79], v[62:63]
	ds_load_2addr_b64 v[78:81], v88 offset0:8 offset1:9
	s_wait_dscnt 0x0
	v_fmac_f64_e32 v[72:73], v[86:87], v[78:79]
	v_mul_f64_e32 v[78:79], v[84:85], v[64:65]
	s_delay_alu instid0(VALU_DEP_1) | instskip(NEXT) | instid1(VALU_DEP_1)
	v_mul_f64_e32 v[78:79], v[78:79], v[74:75]
	v_fmac_f64_e32 v[72:73], v[78:79], v[80:81]
	v_mul_f64_e32 v[78:79], v[82:83], v[52:53]
	s_delay_alu instid0(VALU_DEP_1) | instskip(NEXT) | instid1(VALU_DEP_1)
	v_mul_f64_e32 v[84:85], v[78:79], v[28:29]
	v_mul_f64_e32 v[78:79], v[84:85], v[4:5]
	s_delay_alu instid0(VALU_DEP_1) | instskip(SKIP_4) | instid1(VALU_DEP_1)
	v_mul_f64_e32 v[86:87], v[78:79], v[56:57]
	ds_load_2addr_b64 v[78:81], v88 offset0:10 offset1:11
	s_wait_dscnt 0x0
	v_fmac_f64_e32 v[72:73], v[86:87], v[78:79]
	v_mul_f64_e32 v[78:79], v[84:85], v[6:7]
	v_mul_f64_e32 v[78:79], v[78:79], v[58:59]
	s_delay_alu instid0(VALU_DEP_1) | instskip(SKIP_1) | instid1(VALU_DEP_1)
	v_fmac_f64_e32 v[72:73], v[78:79], v[80:81]
	v_mul_f64_e32 v[78:79], v[84:85], v[0:1]
	v_mul_f64_e32 v[86:87], v[78:79], v[60:61]
	ds_load_2addr_b64 v[78:81], v88 offset0:12 offset1:13
	s_wait_dscnt 0x0
	v_fmac_f64_e32 v[72:73], v[86:87], v[78:79]
	v_mul_f64_e32 v[78:79], v[84:85], v[2:3]
	s_delay_alu instid0(VALU_DEP_1) | instskip(NEXT) | instid1(VALU_DEP_1)
	v_mul_f64_e32 v[78:79], v[78:79], v[62:63]
	v_fmac_f64_e32 v[72:73], v[78:79], v[80:81]
	v_mul_f64_e32 v[78:79], v[84:85], v[64:65]
	s_delay_alu instid0(VALU_DEP_1) | instskip(SKIP_4) | instid1(VALU_DEP_1)
	v_mul_f64_e32 v[84:85], v[78:79], v[74:75]
	ds_load_2addr_b64 v[78:81], v88 offset0:14 offset1:15
	s_wait_dscnt 0x0
	v_fmac_f64_e32 v[72:73], v[84:85], v[78:79]
	v_mul_f64_e32 v[78:79], v[82:83], v[54:55]
	v_mul_f64_e32 v[84:85], v[78:79], v[36:37]
	s_delay_alu instid0(VALU_DEP_1) | instskip(NEXT) | instid1(VALU_DEP_1)
	v_mul_f64_e32 v[78:79], v[84:85], v[4:5]
	v_mul_f64_e32 v[78:79], v[78:79], v[56:57]
	s_delay_alu instid0(VALU_DEP_1) | instskip(SKIP_1) | instid1(VALU_DEP_1)
	v_fmac_f64_e32 v[72:73], v[78:79], v[80:81]
	v_mul_f64_e32 v[78:79], v[84:85], v[6:7]
	v_mul_f64_e32 v[86:87], v[78:79], v[58:59]
	ds_load_2addr_b64 v[78:81], v88 offset0:16 offset1:17
	s_wait_dscnt 0x0
	v_fmac_f64_e32 v[72:73], v[86:87], v[78:79]
	v_mul_f64_e32 v[78:79], v[84:85], v[0:1]
	s_delay_alu instid0(VALU_DEP_1) | instskip(NEXT) | instid1(VALU_DEP_1)
	v_mul_f64_e32 v[78:79], v[78:79], v[60:61]
	v_fmac_f64_e32 v[72:73], v[78:79], v[80:81]
	v_mul_f64_e32 v[78:79], v[84:85], v[2:3]
	s_delay_alu instid0(VALU_DEP_1) | instskip(SKIP_4) | instid1(VALU_DEP_1)
	v_mul_f64_e32 v[86:87], v[78:79], v[62:63]
	ds_load_2addr_b64 v[78:81], v88 offset0:18 offset1:19
	s_wait_dscnt 0x0
	v_fmac_f64_e32 v[72:73], v[86:87], v[78:79]
	v_mul_f64_e32 v[78:79], v[84:85], v[64:65]
	v_mul_f64_e32 v[78:79], v[78:79], v[74:75]
	s_delay_alu instid0(VALU_DEP_1) | instskip(SKIP_1) | instid1(VALU_DEP_1)
	v_fmac_f64_e32 v[72:73], v[78:79], v[80:81]
	v_mul_f64_e32 v[78:79], v[82:83], v[66:67]
	v_mul_f64_e32 v[82:83], v[78:79], v[44:45]
	s_delay_alu instid0(VALU_DEP_1) | instskip(NEXT) | instid1(VALU_DEP_1)
	v_mul_f64_e32 v[78:79], v[82:83], v[4:5]
	v_mul_f64_e32 v[84:85], v[78:79], v[56:57]
	ds_load_2addr_b64 v[78:81], v88 offset0:20 offset1:21
	s_wait_dscnt 0x0
	v_fmac_f64_e32 v[72:73], v[84:85], v[78:79]
	v_mul_f64_e32 v[78:79], v[82:83], v[6:7]
	s_delay_alu instid0(VALU_DEP_1) | instskip(NEXT) | instid1(VALU_DEP_1)
	v_mul_f64_e32 v[78:79], v[78:79], v[58:59]
	v_fmac_f64_e32 v[72:73], v[78:79], v[80:81]
	v_mul_f64_e32 v[78:79], v[82:83], v[0:1]
	s_delay_alu instid0(VALU_DEP_1) | instskip(SKIP_4) | instid1(VALU_DEP_1)
	v_mul_f64_e32 v[84:85], v[78:79], v[60:61]
	ds_load_2addr_b64 v[78:81], v88 offset0:22 offset1:23
	s_wait_dscnt 0x0
	v_fmac_f64_e32 v[72:73], v[84:85], v[78:79]
	v_mul_f64_e32 v[78:79], v[82:83], v[2:3]
	v_mul_f64_e32 v[78:79], v[78:79], v[62:63]
	s_delay_alu instid0(VALU_DEP_1) | instskip(SKIP_4) | instid1(VALU_DEP_1)
	v_fmac_f64_e32 v[72:73], v[78:79], v[80:81]
	v_mul_f64_e32 v[78:79], v[82:83], v[64:65]
	ds_load_b64 v[80:81], v88 offset:192
	v_mul_f64_e32 v[78:79], v[78:79], v[74:75]
	s_wait_dscnt 0x0
	v_fmac_f64_e32 v[72:73], v[78:79], v[80:81]
	s_cbranch_scc1 .LBB0_18
; %bb.19:                               ;   in Loop: Header=BB0_17 Depth=2
	s_lshl_b64 s[4:5], s[2:3], 13
	s_add_nc_u64 s[2:3], s[2:3], 1
	v_add_nc_u64_e32 v[56:57], s[4:5], v[70:71]
	s_cmp_eq_u64 s[2:3], 4
	global_store_b64 v[56:57], v[72:73], off
	s_cbranch_scc0 .LBB0_17
; %bb.20:                               ;   in Loop: Header=BB0_16 Depth=1
	s_mov_b64 s[2:3], 0
.LBB0_21:                               ;   Parent Loop BB0_16 Depth=1
                                        ; =>  This Loop Header: Depth=2
                                        ;       Child Loop BB0_22 Depth 3
	s_delay_alu instid0(SALU_CYCLE_1)
	s_lshl_b32 s4, s2, 3
	s_mov_b32 s7, 0
	s_wait_xcnt 0x0
	v_mov_b32_e32 v72, s4
	s_mov_b64 s[4:5], 5
	s_mov_b32 s8, 0
	ds_load_2addr_b64 v[56:59], v72 offset0:126 offset1:130
	ds_load_2addr_b64 v[60:63], v72 offset0:134 offset1:138
	ds_load_b64 v[74:75], v72 offset:1136
	v_mov_b64_e32 v[72:73], 0
.LBB0_22:                               ;   Parent Loop BB0_16 Depth=1
                                        ;     Parent Loop BB0_21 Depth=2
                                        ; =>    This Inner Loop Header: Depth=3
	s_add_co_i32 s9, s6, s7
	s_delay_alu instid0(SALU_CYCLE_1)
	v_dual_mov_b32 v80, s9 :: v_dual_add_nc_u32 v77, s7, v76
	s_add_nc_u64 s[4:5], s[4:5], -1
	s_add_co_i32 s7, s7, 32
	ds_load_b64 v[78:79], v77
	ds_load_b64 v[80:81], v80
	v_mov_b32_e32 v77, s8
	s_addk_co_i32 s8, 0xc8
	s_cmp_lg_u64 s[4:5], 0
	s_wait_dscnt 0x0
	v_mul_f64_e32 v[82:83], v[78:79], v[80:81]
	s_delay_alu instid0(VALU_DEP_1) | instskip(NEXT) | instid1(VALU_DEP_1)
	v_mul_f64_e32 v[78:79], v[82:83], v[8:9]
	v_mul_f64_e32 v[84:85], v[78:79], v[14:15]
	s_delay_alu instid0(VALU_DEP_1) | instskip(SKIP_2) | instid1(VALU_DEP_3)
	v_mul_f64_e32 v[78:79], v[84:85], v[4:5]
	v_mul_f64_e32 v[86:87], v[84:85], v[6:7]
	;; [unrolled: 1-line block ×4, first 2 shown]
	ds_load_2addr_b64 v[78:81], v77 offset1:1
	v_mul_f64_e32 v[86:87], v[86:87], v[58:59]
	v_mul_f64_e32 v[90:91], v[90:91], v[60:61]
	s_wait_dscnt 0x0
	v_fmac_f64_e32 v[72:73], v[88:89], v[78:79]
	v_mul_f64_e32 v[88:89], v[82:83], v[10:11]
	s_delay_alu instid0(VALU_DEP_2)
	v_fmac_f64_e32 v[72:73], v[86:87], v[80:81]
	v_mul_f64_e32 v[86:87], v[84:85], v[2:3]
	ds_load_2addr_b64 v[78:81], v77 offset0:2 offset1:3
	v_mul_f64_e32 v[88:89], v[88:89], v[22:23]
	v_mul_f64_e32 v[84:85], v[84:85], v[64:65]
	s_wait_dscnt 0x0
	v_fmac_f64_e32 v[72:73], v[90:91], v[78:79]
	v_mul_f64_e32 v[86:87], v[86:87], v[62:63]
	s_delay_alu instid0(VALU_DEP_4) | instskip(NEXT) | instid1(VALU_DEP_4)
	v_mul_f64_e32 v[90:91], v[88:89], v[4:5]
	v_mul_f64_e32 v[84:85], v[84:85], v[74:75]
	s_delay_alu instid0(VALU_DEP_3)
	v_fmac_f64_e32 v[72:73], v[86:87], v[80:81]
	ds_load_2addr_b64 v[78:81], v77 offset0:4 offset1:5
	v_mul_f64_e32 v[86:87], v[88:89], v[6:7]
	v_mul_f64_e32 v[90:91], v[90:91], v[56:57]
	s_wait_dscnt 0x0
	v_fmac_f64_e32 v[72:73], v[84:85], v[78:79]
	v_mul_f64_e32 v[84:85], v[88:89], v[0:1]
	s_delay_alu instid0(VALU_DEP_4) | instskip(NEXT) | instid1(VALU_DEP_3)
	v_mul_f64_e32 v[86:87], v[86:87], v[58:59]
	v_fmac_f64_e32 v[72:73], v[90:91], v[80:81]
	ds_load_2addr_b64 v[78:81], v77 offset0:6 offset1:7
	v_mul_f64_e32 v[90:91], v[82:83], v[52:53]
	v_mul_f64_e32 v[84:85], v[84:85], v[60:61]
	s_wait_dscnt 0x0
	v_fmac_f64_e32 v[72:73], v[86:87], v[78:79]
	v_mul_f64_e32 v[78:79], v[88:89], v[2:3]
	s_delay_alu instid0(VALU_DEP_4) | instskip(SKIP_1) | instid1(VALU_DEP_4)
	v_mul_f64_e32 v[86:87], v[90:91], v[30:31]
	v_mul_f64_e32 v[88:89], v[88:89], v[64:65]
	v_fmac_f64_e32 v[72:73], v[84:85], v[80:81]
	s_delay_alu instid0(VALU_DEP_4)
	v_mul_f64_e32 v[90:91], v[78:79], v[62:63]
	ds_load_2addr_b64 v[78:81], v77 offset0:8 offset1:9
	v_mul_f64_e32 v[84:85], v[86:87], v[4:5]
	v_mul_f64_e32 v[88:89], v[88:89], v[74:75]
	s_wait_dscnt 0x0
	v_fmac_f64_e32 v[72:73], v[90:91], v[78:79]
	v_mul_f64_e32 v[90:91], v[86:87], v[6:7]
	s_delay_alu instid0(VALU_DEP_4) | instskip(NEXT) | instid1(VALU_DEP_3)
	v_mul_f64_e32 v[84:85], v[84:85], v[56:57]
	v_fmac_f64_e32 v[72:73], v[88:89], v[80:81]
	ds_load_2addr_b64 v[78:81], v77 offset0:10 offset1:11
	v_mul_f64_e32 v[88:89], v[86:87], v[0:1]
	v_mul_f64_e32 v[90:91], v[90:91], v[58:59]
	s_wait_dscnt 0x0
	v_fmac_f64_e32 v[72:73], v[84:85], v[78:79]
	v_mul_f64_e32 v[84:85], v[82:83], v[54:55]
	s_delay_alu instid0(VALU_DEP_4) | instskip(SKIP_1) | instid1(VALU_DEP_4)
	v_mul_f64_e32 v[88:89], v[88:89], v[60:61]
	v_mul_f64_e32 v[82:83], v[82:83], v[66:67]
	v_fmac_f64_e32 v[72:73], v[90:91], v[80:81]
	v_mul_f64_e32 v[90:91], v[86:87], v[2:3]
	ds_load_2addr_b64 v[78:81], v77 offset0:12 offset1:13
	v_mul_f64_e32 v[84:85], v[84:85], v[38:39]
	v_mul_f64_e32 v[86:87], v[86:87], v[64:65]
	;; [unrolled: 1-line block ×3, first 2 shown]
	s_wait_dscnt 0x0
	v_fmac_f64_e32 v[72:73], v[88:89], v[78:79]
	v_mul_f64_e32 v[90:91], v[90:91], v[62:63]
	v_mul_f64_e32 v[88:89], v[84:85], v[4:5]
	v_mul_f64_e32 v[86:87], v[86:87], v[74:75]
	s_delay_alu instid0(VALU_DEP_3)
	v_fmac_f64_e32 v[72:73], v[90:91], v[80:81]
	ds_load_2addr_b64 v[78:81], v77 offset0:14 offset1:15
	v_mul_f64_e32 v[90:91], v[84:85], v[6:7]
	v_mul_f64_e32 v[88:89], v[88:89], v[56:57]
	s_wait_dscnt 0x0
	v_fmac_f64_e32 v[72:73], v[86:87], v[78:79]
	v_mul_f64_e32 v[86:87], v[84:85], v[0:1]
	s_delay_alu instid0(VALU_DEP_4) | instskip(NEXT) | instid1(VALU_DEP_3)
	v_mul_f64_e32 v[90:91], v[90:91], v[58:59]
	v_fmac_f64_e32 v[72:73], v[88:89], v[80:81]
	ds_load_2addr_b64 v[78:81], v77 offset0:16 offset1:17
	v_mul_f64_e32 v[88:89], v[84:85], v[2:3]
	v_mul_f64_e32 v[86:87], v[86:87], v[60:61]
	;; [unrolled: 1-line block ×3, first 2 shown]
	s_wait_dscnt 0x0
	v_fmac_f64_e32 v[72:73], v[90:91], v[78:79]
	s_delay_alu instid0(VALU_DEP_4) | instskip(NEXT) | instid1(VALU_DEP_3)
	v_mul_f64_e32 v[88:89], v[88:89], v[62:63]
	v_mul_f64_e32 v[84:85], v[84:85], v[74:75]
	s_delay_alu instid0(VALU_DEP_3)
	v_fmac_f64_e32 v[72:73], v[86:87], v[80:81]
	ds_load_2addr_b64 v[78:81], v77 offset0:18 offset1:19
	v_mul_f64_e32 v[86:87], v[82:83], v[4:5]
	s_wait_dscnt 0x0
	v_fmac_f64_e32 v[72:73], v[88:89], v[78:79]
	v_mul_f64_e32 v[88:89], v[82:83], v[6:7]
	s_delay_alu instid0(VALU_DEP_3) | instskip(NEXT) | instid1(VALU_DEP_3)
	v_mul_f64_e32 v[86:87], v[86:87], v[56:57]
	v_fmac_f64_e32 v[72:73], v[84:85], v[80:81]
	ds_load_2addr_b64 v[78:81], v77 offset0:20 offset1:21
	v_mul_f64_e32 v[84:85], v[82:83], v[0:1]
	v_mul_f64_e32 v[88:89], v[88:89], v[58:59]
	s_wait_dscnt 0x0
	v_fmac_f64_e32 v[72:73], v[86:87], v[78:79]
	v_mul_f64_e32 v[86:87], v[82:83], v[2:3]
	s_delay_alu instid0(VALU_DEP_4) | instskip(SKIP_1) | instid1(VALU_DEP_4)
	v_mul_f64_e32 v[84:85], v[84:85], v[60:61]
	v_mul_f64_e32 v[82:83], v[82:83], v[64:65]
	v_fmac_f64_e32 v[72:73], v[88:89], v[80:81]
	ds_load_2addr_b64 v[78:81], v77 offset0:22 offset1:23
	v_mul_f64_e32 v[86:87], v[86:87], v[62:63]
	s_wait_dscnt 0x0
	v_fmac_f64_e32 v[72:73], v[84:85], v[78:79]
	v_mul_f64_e32 v[78:79], v[82:83], v[74:75]
	s_delay_alu instid0(VALU_DEP_2)
	v_fmac_f64_e32 v[72:73], v[86:87], v[80:81]
	ds_load_b64 v[80:81], v77 offset:192
	s_wait_dscnt 0x0
	v_fmac_f64_e32 v[72:73], v[78:79], v[80:81]
	s_cbranch_scc1 .LBB0_22
; %bb.23:                               ;   in Loop: Header=BB0_21 Depth=2
	s_lshl_b64 s[4:5], s[2:3], 13
	s_add_nc_u64 s[2:3], s[2:3], 1
	v_add_nc_u64_e32 v[56:57], s[4:5], v[70:71]
	s_cmp_lg_u64 s[2:3], 4
	global_store_b64 v[56:57], v[72:73], off offset:2048
	s_cbranch_scc1 .LBB0_21
; %bb.24:                               ;   in Loop: Header=BB0_16 Depth=1
	s_mov_b64 s[2:3], 0
.LBB0_25:                               ;   Parent Loop BB0_16 Depth=1
                                        ; =>  This Loop Header: Depth=2
                                        ;       Child Loop BB0_26 Depth 3
	s_delay_alu instid0(SALU_CYCLE_1)
	s_lshl_b32 s4, s2, 3
	s_mov_b32 s7, 0
	s_wait_xcnt 0x0
	v_mov_b32_e32 v72, s4
	s_mov_b64 s[4:5], 5
	s_mov_b32 s8, 0
	ds_load_2addr_b64 v[56:59], v72 offset0:126 offset1:130
	ds_load_2addr_b64 v[60:63], v72 offset0:134 offset1:138
	ds_load_b64 v[74:75], v72 offset:1136
	v_mov_b64_e32 v[72:73], 0
.LBB0_26:                               ;   Parent Loop BB0_16 Depth=1
                                        ;     Parent Loop BB0_25 Depth=2
                                        ; =>    This Inner Loop Header: Depth=3
	v_add_nc_u32_e32 v77, s7, v76
	s_add_co_i32 s9, s6, s7
	s_add_nc_u64 s[4:5], s[4:5], -1
	s_add_co_i32 s7, s7, 32
	ds_load_b64 v[78:79], v77
	v_mov_b32_e32 v77, s9
	ds_load_b64 v[80:81], v77
	v_mov_b32_e32 v77, s8
	s_addk_co_i32 s8, 0xc8
	s_cmp_lg_u64 s[4:5], 0
	s_wait_dscnt 0x0
	v_mul_f64_e32 v[82:83], v[78:79], v[80:81]
	s_delay_alu instid0(VALU_DEP_1) | instskip(NEXT) | instid1(VALU_DEP_1)
	v_mul_f64_e32 v[78:79], v[82:83], v[8:9]
	v_mul_f64_e32 v[84:85], v[78:79], v[16:17]
	s_delay_alu instid0(VALU_DEP_1) | instskip(NEXT) | instid1(VALU_DEP_1)
	v_mul_f64_e32 v[78:79], v[84:85], v[4:5]
	v_mul_f64_e32 v[86:87], v[78:79], v[56:57]
	ds_load_2addr_b64 v[78:81], v77 offset1:1
	s_wait_dscnt 0x0
	v_fmac_f64_e32 v[72:73], v[86:87], v[78:79]
	v_mul_f64_e32 v[78:79], v[84:85], v[6:7]
	s_delay_alu instid0(VALU_DEP_1) | instskip(NEXT) | instid1(VALU_DEP_1)
	v_mul_f64_e32 v[78:79], v[78:79], v[58:59]
	v_fmac_f64_e32 v[72:73], v[78:79], v[80:81]
	v_mul_f64_e32 v[78:79], v[84:85], v[0:1]
	s_delay_alu instid0(VALU_DEP_1) | instskip(SKIP_4) | instid1(VALU_DEP_1)
	v_mul_f64_e32 v[86:87], v[78:79], v[60:61]
	ds_load_2addr_b64 v[78:81], v77 offset0:2 offset1:3
	s_wait_dscnt 0x0
	v_fmac_f64_e32 v[72:73], v[86:87], v[78:79]
	v_mul_f64_e32 v[78:79], v[84:85], v[2:3]
	v_mul_f64_e32 v[78:79], v[78:79], v[62:63]
	s_delay_alu instid0(VALU_DEP_1) | instskip(SKIP_1) | instid1(VALU_DEP_1)
	v_fmac_f64_e32 v[72:73], v[78:79], v[80:81]
	v_mul_f64_e32 v[78:79], v[84:85], v[64:65]
	v_mul_f64_e32 v[84:85], v[78:79], v[74:75]
	ds_load_2addr_b64 v[78:81], v77 offset0:4 offset1:5
	s_wait_dscnt 0x0
	v_fmac_f64_e32 v[72:73], v[84:85], v[78:79]
	v_mul_f64_e32 v[78:79], v[82:83], v[10:11]
	s_delay_alu instid0(VALU_DEP_1) | instskip(NEXT) | instid1(VALU_DEP_1)
	v_mul_f64_e32 v[84:85], v[78:79], v[24:25]
	v_mul_f64_e32 v[78:79], v[84:85], v[4:5]
	s_delay_alu instid0(VALU_DEP_1) | instskip(NEXT) | instid1(VALU_DEP_1)
	v_mul_f64_e32 v[78:79], v[78:79], v[56:57]
	v_fmac_f64_e32 v[72:73], v[78:79], v[80:81]
	v_mul_f64_e32 v[78:79], v[84:85], v[6:7]
	s_delay_alu instid0(VALU_DEP_1) | instskip(SKIP_4) | instid1(VALU_DEP_1)
	v_mul_f64_e32 v[86:87], v[78:79], v[58:59]
	ds_load_2addr_b64 v[78:81], v77 offset0:6 offset1:7
	s_wait_dscnt 0x0
	v_fmac_f64_e32 v[72:73], v[86:87], v[78:79]
	v_mul_f64_e32 v[78:79], v[84:85], v[0:1]
	v_mul_f64_e32 v[78:79], v[78:79], v[60:61]
	s_delay_alu instid0(VALU_DEP_1) | instskip(SKIP_1) | instid1(VALU_DEP_1)
	v_fmac_f64_e32 v[72:73], v[78:79], v[80:81]
	v_mul_f64_e32 v[78:79], v[84:85], v[2:3]
	v_mul_f64_e32 v[86:87], v[78:79], v[62:63]
	ds_load_2addr_b64 v[78:81], v77 offset0:8 offset1:9
	s_wait_dscnt 0x0
	v_fmac_f64_e32 v[72:73], v[86:87], v[78:79]
	v_mul_f64_e32 v[78:79], v[84:85], v[64:65]
	s_delay_alu instid0(VALU_DEP_1) | instskip(NEXT) | instid1(VALU_DEP_1)
	v_mul_f64_e32 v[78:79], v[78:79], v[74:75]
	v_fmac_f64_e32 v[72:73], v[78:79], v[80:81]
	v_mul_f64_e32 v[78:79], v[82:83], v[52:53]
	s_delay_alu instid0(VALU_DEP_1) | instskip(NEXT) | instid1(VALU_DEP_1)
	v_mul_f64_e32 v[84:85], v[78:79], v[32:33]
	v_mul_f64_e32 v[78:79], v[84:85], v[4:5]
	s_delay_alu instid0(VALU_DEP_1) | instskip(SKIP_4) | instid1(VALU_DEP_1)
	v_mul_f64_e32 v[86:87], v[78:79], v[56:57]
	ds_load_2addr_b64 v[78:81], v77 offset0:10 offset1:11
	s_wait_dscnt 0x0
	v_fmac_f64_e32 v[72:73], v[86:87], v[78:79]
	v_mul_f64_e32 v[78:79], v[84:85], v[6:7]
	v_mul_f64_e32 v[78:79], v[78:79], v[58:59]
	s_delay_alu instid0(VALU_DEP_1) | instskip(SKIP_1) | instid1(VALU_DEP_1)
	v_fmac_f64_e32 v[72:73], v[78:79], v[80:81]
	v_mul_f64_e32 v[78:79], v[84:85], v[0:1]
	v_mul_f64_e32 v[86:87], v[78:79], v[60:61]
	ds_load_2addr_b64 v[78:81], v77 offset0:12 offset1:13
	s_wait_dscnt 0x0
	v_fmac_f64_e32 v[72:73], v[86:87], v[78:79]
	v_mul_f64_e32 v[78:79], v[84:85], v[2:3]
	s_delay_alu instid0(VALU_DEP_1) | instskip(NEXT) | instid1(VALU_DEP_1)
	v_mul_f64_e32 v[78:79], v[78:79], v[62:63]
	v_fmac_f64_e32 v[72:73], v[78:79], v[80:81]
	v_mul_f64_e32 v[78:79], v[84:85], v[64:65]
	s_delay_alu instid0(VALU_DEP_1) | instskip(SKIP_4) | instid1(VALU_DEP_1)
	v_mul_f64_e32 v[84:85], v[78:79], v[74:75]
	ds_load_2addr_b64 v[78:81], v77 offset0:14 offset1:15
	s_wait_dscnt 0x0
	v_fmac_f64_e32 v[72:73], v[84:85], v[78:79]
	v_mul_f64_e32 v[78:79], v[82:83], v[54:55]
	v_mul_f64_e32 v[84:85], v[78:79], v[40:41]
	s_delay_alu instid0(VALU_DEP_1) | instskip(NEXT) | instid1(VALU_DEP_1)
	v_mul_f64_e32 v[78:79], v[84:85], v[4:5]
	v_mul_f64_e32 v[78:79], v[78:79], v[56:57]
	s_delay_alu instid0(VALU_DEP_1) | instskip(SKIP_1) | instid1(VALU_DEP_1)
	v_fmac_f64_e32 v[72:73], v[78:79], v[80:81]
	v_mul_f64_e32 v[78:79], v[84:85], v[6:7]
	v_mul_f64_e32 v[86:87], v[78:79], v[58:59]
	ds_load_2addr_b64 v[78:81], v77 offset0:16 offset1:17
	s_wait_dscnt 0x0
	v_fmac_f64_e32 v[72:73], v[86:87], v[78:79]
	v_mul_f64_e32 v[78:79], v[84:85], v[0:1]
	s_delay_alu instid0(VALU_DEP_1) | instskip(NEXT) | instid1(VALU_DEP_1)
	v_mul_f64_e32 v[78:79], v[78:79], v[60:61]
	v_fmac_f64_e32 v[72:73], v[78:79], v[80:81]
	v_mul_f64_e32 v[78:79], v[84:85], v[2:3]
	s_delay_alu instid0(VALU_DEP_1) | instskip(SKIP_4) | instid1(VALU_DEP_1)
	v_mul_f64_e32 v[86:87], v[78:79], v[62:63]
	ds_load_2addr_b64 v[78:81], v77 offset0:18 offset1:19
	s_wait_dscnt 0x0
	v_fmac_f64_e32 v[72:73], v[86:87], v[78:79]
	v_mul_f64_e32 v[78:79], v[84:85], v[64:65]
	v_mul_f64_e32 v[78:79], v[78:79], v[74:75]
	s_delay_alu instid0(VALU_DEP_1) | instskip(SKIP_1) | instid1(VALU_DEP_1)
	v_fmac_f64_e32 v[72:73], v[78:79], v[80:81]
	v_mul_f64_e32 v[78:79], v[82:83], v[66:67]
	v_mul_f64_e32 v[82:83], v[78:79], v[48:49]
	s_delay_alu instid0(VALU_DEP_1) | instskip(NEXT) | instid1(VALU_DEP_1)
	v_mul_f64_e32 v[78:79], v[82:83], v[4:5]
	v_mul_f64_e32 v[84:85], v[78:79], v[56:57]
	ds_load_2addr_b64 v[78:81], v77 offset0:20 offset1:21
	s_wait_dscnt 0x0
	v_fmac_f64_e32 v[72:73], v[84:85], v[78:79]
	v_mul_f64_e32 v[78:79], v[82:83], v[6:7]
	s_delay_alu instid0(VALU_DEP_1) | instskip(NEXT) | instid1(VALU_DEP_1)
	v_mul_f64_e32 v[78:79], v[78:79], v[58:59]
	v_fmac_f64_e32 v[72:73], v[78:79], v[80:81]
	v_mul_f64_e32 v[78:79], v[82:83], v[0:1]
	s_delay_alu instid0(VALU_DEP_1) | instskip(SKIP_4) | instid1(VALU_DEP_1)
	v_mul_f64_e32 v[84:85], v[78:79], v[60:61]
	ds_load_2addr_b64 v[78:81], v77 offset0:22 offset1:23
	s_wait_dscnt 0x0
	v_fmac_f64_e32 v[72:73], v[84:85], v[78:79]
	v_mul_f64_e32 v[78:79], v[82:83], v[2:3]
	v_mul_f64_e32 v[78:79], v[78:79], v[62:63]
	s_delay_alu instid0(VALU_DEP_1) | instskip(SKIP_4) | instid1(VALU_DEP_1)
	v_fmac_f64_e32 v[72:73], v[78:79], v[80:81]
	v_mul_f64_e32 v[78:79], v[82:83], v[64:65]
	ds_load_b64 v[80:81], v77 offset:192
	v_mul_f64_e32 v[78:79], v[78:79], v[74:75]
	s_wait_dscnt 0x0
	v_fmac_f64_e32 v[72:73], v[78:79], v[80:81]
	s_cbranch_scc1 .LBB0_26
; %bb.27:                               ;   in Loop: Header=BB0_25 Depth=2
	s_lshl_b64 s[4:5], s[2:3], 13
	s_add_nc_u64 s[2:3], s[2:3], 1
	v_add_nc_u64_e32 v[56:57], s[4:5], v[70:71]
	s_cmp_lg_u64 s[2:3], 4
	global_store_b64 v[56:57], v[72:73], off offset:4096
	s_cbranch_scc1 .LBB0_25
; %bb.28:                               ;   in Loop: Header=BB0_16 Depth=1
	s_mov_b64 s[2:3], 0
.LBB0_29:                               ;   Parent Loop BB0_16 Depth=1
                                        ; =>  This Loop Header: Depth=2
                                        ;       Child Loop BB0_30 Depth 3
	s_delay_alu instid0(SALU_CYCLE_1)
	s_lshl_b32 s4, s2, 3
	s_mov_b32 s7, 0
	s_wait_xcnt 0x0
	v_mov_b32_e32 v72, s4
	s_mov_b64 s[4:5], 5
	s_mov_b32 s8, 0
	ds_load_2addr_b64 v[56:59], v72 offset0:126 offset1:130
	ds_load_2addr_b64 v[60:63], v72 offset0:134 offset1:138
	ds_load_b64 v[74:75], v72 offset:1136
	v_mov_b64_e32 v[72:73], 0
.LBB0_30:                               ;   Parent Loop BB0_16 Depth=1
                                        ;     Parent Loop BB0_29 Depth=2
                                        ; =>    This Inner Loop Header: Depth=3
	v_add_nc_u32_e32 v77, s7, v76
	s_add_co_i32 s9, s6, s7
	s_add_nc_u64 s[4:5], s[4:5], -1
	s_add_co_i32 s7, s7, 32
	ds_load_b64 v[78:79], v77
	v_mov_b32_e32 v77, s9
	ds_load_b64 v[80:81], v77
	v_mov_b32_e32 v77, s8
	s_addk_co_i32 s8, 0xc8
	s_cmp_lg_u64 s[4:5], 0
	s_wait_dscnt 0x0
	v_mul_f64_e32 v[82:83], v[78:79], v[80:81]
	s_delay_alu instid0(VALU_DEP_1) | instskip(NEXT) | instid1(VALU_DEP_1)
	v_mul_f64_e32 v[78:79], v[82:83], v[8:9]
	v_mul_f64_e32 v[84:85], v[78:79], v[18:19]
	s_delay_alu instid0(VALU_DEP_1) | instskip(NEXT) | instid1(VALU_DEP_1)
	v_mul_f64_e32 v[78:79], v[84:85], v[4:5]
	v_mul_f64_e32 v[86:87], v[78:79], v[56:57]
	ds_load_2addr_b64 v[78:81], v77 offset1:1
	s_wait_dscnt 0x0
	v_fmac_f64_e32 v[72:73], v[86:87], v[78:79]
	v_mul_f64_e32 v[78:79], v[84:85], v[6:7]
	s_delay_alu instid0(VALU_DEP_1) | instskip(NEXT) | instid1(VALU_DEP_1)
	v_mul_f64_e32 v[78:79], v[78:79], v[58:59]
	v_fmac_f64_e32 v[72:73], v[78:79], v[80:81]
	v_mul_f64_e32 v[78:79], v[84:85], v[0:1]
	s_delay_alu instid0(VALU_DEP_1) | instskip(SKIP_4) | instid1(VALU_DEP_1)
	v_mul_f64_e32 v[86:87], v[78:79], v[60:61]
	ds_load_2addr_b64 v[78:81], v77 offset0:2 offset1:3
	s_wait_dscnt 0x0
	v_fmac_f64_e32 v[72:73], v[86:87], v[78:79]
	v_mul_f64_e32 v[78:79], v[84:85], v[2:3]
	v_mul_f64_e32 v[78:79], v[78:79], v[62:63]
	s_delay_alu instid0(VALU_DEP_1) | instskip(SKIP_1) | instid1(VALU_DEP_1)
	v_fmac_f64_e32 v[72:73], v[78:79], v[80:81]
	v_mul_f64_e32 v[78:79], v[84:85], v[64:65]
	v_mul_f64_e32 v[84:85], v[78:79], v[74:75]
	ds_load_2addr_b64 v[78:81], v77 offset0:4 offset1:5
	s_wait_dscnt 0x0
	v_fmac_f64_e32 v[72:73], v[84:85], v[78:79]
	v_mul_f64_e32 v[78:79], v[82:83], v[10:11]
	s_delay_alu instid0(VALU_DEP_1) | instskip(NEXT) | instid1(VALU_DEP_1)
	v_mul_f64_e32 v[84:85], v[78:79], v[26:27]
	v_mul_f64_e32 v[78:79], v[84:85], v[4:5]
	s_delay_alu instid0(VALU_DEP_1) | instskip(NEXT) | instid1(VALU_DEP_1)
	v_mul_f64_e32 v[78:79], v[78:79], v[56:57]
	v_fmac_f64_e32 v[72:73], v[78:79], v[80:81]
	v_mul_f64_e32 v[78:79], v[84:85], v[6:7]
	s_delay_alu instid0(VALU_DEP_1) | instskip(SKIP_4) | instid1(VALU_DEP_1)
	v_mul_f64_e32 v[86:87], v[78:79], v[58:59]
	ds_load_2addr_b64 v[78:81], v77 offset0:6 offset1:7
	s_wait_dscnt 0x0
	v_fmac_f64_e32 v[72:73], v[86:87], v[78:79]
	v_mul_f64_e32 v[78:79], v[84:85], v[0:1]
	v_mul_f64_e32 v[78:79], v[78:79], v[60:61]
	s_delay_alu instid0(VALU_DEP_1) | instskip(SKIP_1) | instid1(VALU_DEP_1)
	v_fmac_f64_e32 v[72:73], v[78:79], v[80:81]
	v_mul_f64_e32 v[78:79], v[84:85], v[2:3]
	v_mul_f64_e32 v[86:87], v[78:79], v[62:63]
	ds_load_2addr_b64 v[78:81], v77 offset0:8 offset1:9
	s_wait_dscnt 0x0
	v_fmac_f64_e32 v[72:73], v[86:87], v[78:79]
	v_mul_f64_e32 v[78:79], v[84:85], v[64:65]
	s_delay_alu instid0(VALU_DEP_1) | instskip(NEXT) | instid1(VALU_DEP_1)
	v_mul_f64_e32 v[78:79], v[78:79], v[74:75]
	v_fmac_f64_e32 v[72:73], v[78:79], v[80:81]
	v_mul_f64_e32 v[78:79], v[82:83], v[52:53]
	s_delay_alu instid0(VALU_DEP_1) | instskip(NEXT) | instid1(VALU_DEP_1)
	v_mul_f64_e32 v[84:85], v[78:79], v[34:35]
	v_mul_f64_e32 v[78:79], v[84:85], v[4:5]
	s_delay_alu instid0(VALU_DEP_1) | instskip(SKIP_4) | instid1(VALU_DEP_1)
	v_mul_f64_e32 v[86:87], v[78:79], v[56:57]
	ds_load_2addr_b64 v[78:81], v77 offset0:10 offset1:11
	s_wait_dscnt 0x0
	v_fmac_f64_e32 v[72:73], v[86:87], v[78:79]
	v_mul_f64_e32 v[78:79], v[84:85], v[6:7]
	v_mul_f64_e32 v[78:79], v[78:79], v[58:59]
	s_delay_alu instid0(VALU_DEP_1) | instskip(SKIP_1) | instid1(VALU_DEP_1)
	v_fmac_f64_e32 v[72:73], v[78:79], v[80:81]
	v_mul_f64_e32 v[78:79], v[84:85], v[0:1]
	v_mul_f64_e32 v[86:87], v[78:79], v[60:61]
	ds_load_2addr_b64 v[78:81], v77 offset0:12 offset1:13
	s_wait_dscnt 0x0
	v_fmac_f64_e32 v[72:73], v[86:87], v[78:79]
	v_mul_f64_e32 v[78:79], v[84:85], v[2:3]
	s_delay_alu instid0(VALU_DEP_1) | instskip(NEXT) | instid1(VALU_DEP_1)
	v_mul_f64_e32 v[78:79], v[78:79], v[62:63]
	v_fmac_f64_e32 v[72:73], v[78:79], v[80:81]
	v_mul_f64_e32 v[78:79], v[84:85], v[64:65]
	s_delay_alu instid0(VALU_DEP_1) | instskip(SKIP_4) | instid1(VALU_DEP_1)
	v_mul_f64_e32 v[84:85], v[78:79], v[74:75]
	ds_load_2addr_b64 v[78:81], v77 offset0:14 offset1:15
	s_wait_dscnt 0x0
	v_fmac_f64_e32 v[72:73], v[84:85], v[78:79]
	v_mul_f64_e32 v[78:79], v[82:83], v[54:55]
	v_mul_f64_e32 v[84:85], v[78:79], v[42:43]
	s_delay_alu instid0(VALU_DEP_1) | instskip(NEXT) | instid1(VALU_DEP_1)
	v_mul_f64_e32 v[78:79], v[84:85], v[4:5]
	v_mul_f64_e32 v[78:79], v[78:79], v[56:57]
	s_delay_alu instid0(VALU_DEP_1) | instskip(SKIP_1) | instid1(VALU_DEP_1)
	v_fmac_f64_e32 v[72:73], v[78:79], v[80:81]
	v_mul_f64_e32 v[78:79], v[84:85], v[6:7]
	v_mul_f64_e32 v[86:87], v[78:79], v[58:59]
	ds_load_2addr_b64 v[78:81], v77 offset0:16 offset1:17
	s_wait_dscnt 0x0
	v_fmac_f64_e32 v[72:73], v[86:87], v[78:79]
	v_mul_f64_e32 v[78:79], v[84:85], v[0:1]
	s_delay_alu instid0(VALU_DEP_1) | instskip(NEXT) | instid1(VALU_DEP_1)
	v_mul_f64_e32 v[78:79], v[78:79], v[60:61]
	v_fmac_f64_e32 v[72:73], v[78:79], v[80:81]
	v_mul_f64_e32 v[78:79], v[84:85], v[2:3]
	s_delay_alu instid0(VALU_DEP_1) | instskip(SKIP_4) | instid1(VALU_DEP_1)
	v_mul_f64_e32 v[86:87], v[78:79], v[62:63]
	ds_load_2addr_b64 v[78:81], v77 offset0:18 offset1:19
	s_wait_dscnt 0x0
	v_fmac_f64_e32 v[72:73], v[86:87], v[78:79]
	v_mul_f64_e32 v[78:79], v[84:85], v[64:65]
	v_mul_f64_e32 v[78:79], v[78:79], v[74:75]
	s_delay_alu instid0(VALU_DEP_1) | instskip(SKIP_1) | instid1(VALU_DEP_1)
	v_fmac_f64_e32 v[72:73], v[78:79], v[80:81]
	v_mul_f64_e32 v[78:79], v[82:83], v[66:67]
	v_mul_f64_e32 v[82:83], v[78:79], v[50:51]
	s_delay_alu instid0(VALU_DEP_1) | instskip(NEXT) | instid1(VALU_DEP_1)
	v_mul_f64_e32 v[78:79], v[82:83], v[4:5]
	v_mul_f64_e32 v[84:85], v[78:79], v[56:57]
	ds_load_2addr_b64 v[78:81], v77 offset0:20 offset1:21
	s_wait_dscnt 0x0
	v_fmac_f64_e32 v[72:73], v[84:85], v[78:79]
	v_mul_f64_e32 v[78:79], v[82:83], v[6:7]
	s_delay_alu instid0(VALU_DEP_1) | instskip(NEXT) | instid1(VALU_DEP_1)
	v_mul_f64_e32 v[78:79], v[78:79], v[58:59]
	v_fmac_f64_e32 v[72:73], v[78:79], v[80:81]
	v_mul_f64_e32 v[78:79], v[82:83], v[0:1]
	s_delay_alu instid0(VALU_DEP_1) | instskip(SKIP_4) | instid1(VALU_DEP_1)
	v_mul_f64_e32 v[84:85], v[78:79], v[60:61]
	ds_load_2addr_b64 v[78:81], v77 offset0:22 offset1:23
	s_wait_dscnt 0x0
	v_fmac_f64_e32 v[72:73], v[84:85], v[78:79]
	v_mul_f64_e32 v[78:79], v[82:83], v[2:3]
	v_mul_f64_e32 v[78:79], v[78:79], v[62:63]
	s_delay_alu instid0(VALU_DEP_1) | instskip(SKIP_4) | instid1(VALU_DEP_1)
	v_fmac_f64_e32 v[72:73], v[78:79], v[80:81]
	v_mul_f64_e32 v[78:79], v[82:83], v[64:65]
	ds_load_b64 v[80:81], v77 offset:192
	v_mul_f64_e32 v[78:79], v[78:79], v[74:75]
	s_wait_dscnt 0x0
	v_fmac_f64_e32 v[72:73], v[78:79], v[80:81]
	s_cbranch_scc1 .LBB0_30
; %bb.31:                               ;   in Loop: Header=BB0_29 Depth=2
	s_lshl_b64 s[4:5], s[2:3], 13
	s_add_nc_u64 s[2:3], s[2:3], 1
	v_add_nc_u64_e32 v[56:57], s[4:5], v[70:71]
	s_cmp_lg_u64 s[2:3], 4
	global_store_b64 v[56:57], v[72:73], off offset:6144
	s_cbranch_scc1 .LBB0_29
; %bb.32:                               ;   in Loop: Header=BB0_16 Depth=1
	s_add_nc_u64 s[0:1], s[0:1], 1
	s_add_co_i32 s6, s6, 8
	s_cmp_eq_u64 s[0:1], 4
	s_cbranch_scc0 .LBB0_16
.LBB0_33:
	s_sendmsg sendmsg(MSG_DEALLOC_VGPRS)
	s_endpgm
	.section	.rodata,"a",@progbits
	.p2align	6, 0x0
	.amdhsa_kernel _ZN8rajaperf4apps8Mass3DEAILm64EEEvPdS2_S2_
		.amdhsa_group_segment_fixed_size 1168
		.amdhsa_private_segment_fixed_size 0
		.amdhsa_kernarg_size 24
		.amdhsa_user_sgpr_count 2
		.amdhsa_user_sgpr_dispatch_ptr 0
		.amdhsa_user_sgpr_queue_ptr 0
		.amdhsa_user_sgpr_kernarg_segment_ptr 1
		.amdhsa_user_sgpr_dispatch_id 0
		.amdhsa_user_sgpr_kernarg_preload_length 0
		.amdhsa_user_sgpr_kernarg_preload_offset 0
		.amdhsa_user_sgpr_private_segment_size 0
		.amdhsa_wavefront_size32 1
		.amdhsa_uses_dynamic_stack 0
		.amdhsa_enable_private_segment 0
		.amdhsa_system_sgpr_workgroup_id_x 1
		.amdhsa_system_sgpr_workgroup_id_y 0
		.amdhsa_system_sgpr_workgroup_id_z 0
		.amdhsa_system_sgpr_workgroup_info 0
		.amdhsa_system_vgpr_workitem_id 2
		.amdhsa_next_free_vgpr 92
		.amdhsa_next_free_sgpr 13
		.amdhsa_named_barrier_count 0
		.amdhsa_reserve_vcc 1
		.amdhsa_float_round_mode_32 0
		.amdhsa_float_round_mode_16_64 0
		.amdhsa_float_denorm_mode_32 3
		.amdhsa_float_denorm_mode_16_64 3
		.amdhsa_fp16_overflow 0
		.amdhsa_memory_ordered 1
		.amdhsa_forward_progress 1
		.amdhsa_inst_pref_size 30
		.amdhsa_round_robin_scheduling 0
		.amdhsa_exception_fp_ieee_invalid_op 0
		.amdhsa_exception_fp_denorm_src 0
		.amdhsa_exception_fp_ieee_div_zero 0
		.amdhsa_exception_fp_ieee_overflow 0
		.amdhsa_exception_fp_ieee_underflow 0
		.amdhsa_exception_fp_ieee_inexact 0
		.amdhsa_exception_int_div_zero 0
	.end_amdhsa_kernel
	.section	.text._ZN8rajaperf4apps8Mass3DEAILm64EEEvPdS2_S2_,"axG",@progbits,_ZN8rajaperf4apps8Mass3DEAILm64EEEvPdS2_S2_,comdat
.Lfunc_end0:
	.size	_ZN8rajaperf4apps8Mass3DEAILm64EEEvPdS2_S2_, .Lfunc_end0-_ZN8rajaperf4apps8Mass3DEAILm64EEEvPdS2_S2_
                                        ; -- End function
	.set _ZN8rajaperf4apps8Mass3DEAILm64EEEvPdS2_S2_.num_vgpr, 92
	.set _ZN8rajaperf4apps8Mass3DEAILm64EEEvPdS2_S2_.num_agpr, 0
	.set _ZN8rajaperf4apps8Mass3DEAILm64EEEvPdS2_S2_.numbered_sgpr, 13
	.set _ZN8rajaperf4apps8Mass3DEAILm64EEEvPdS2_S2_.num_named_barrier, 0
	.set _ZN8rajaperf4apps8Mass3DEAILm64EEEvPdS2_S2_.private_seg_size, 0
	.set _ZN8rajaperf4apps8Mass3DEAILm64EEEvPdS2_S2_.uses_vcc, 1
	.set _ZN8rajaperf4apps8Mass3DEAILm64EEEvPdS2_S2_.uses_flat_scratch, 0
	.set _ZN8rajaperf4apps8Mass3DEAILm64EEEvPdS2_S2_.has_dyn_sized_stack, 0
	.set _ZN8rajaperf4apps8Mass3DEAILm64EEEvPdS2_S2_.has_recursion, 0
	.set _ZN8rajaperf4apps8Mass3DEAILm64EEEvPdS2_S2_.has_indirect_call, 0
	.section	.AMDGPU.csdata,"",@progbits
; Kernel info:
; codeLenInByte = 3796
; TotalNumSgprs: 15
; NumVgprs: 92
; ScratchSize: 0
; MemoryBound: 0
; FloatMode: 240
; IeeeMode: 1
; LDSByteSize: 1168 bytes/workgroup (compile time only)
; SGPRBlocks: 0
; VGPRBlocks: 5
; NumSGPRsForWavesPerEU: 15
; NumVGPRsForWavesPerEU: 92
; NamedBarCnt: 0
; Occupancy: 10
; WaveLimiterHint : 0
; COMPUTE_PGM_RSRC2:SCRATCH_EN: 0
; COMPUTE_PGM_RSRC2:USER_SGPR: 2
; COMPUTE_PGM_RSRC2:TRAP_HANDLER: 0
; COMPUTE_PGM_RSRC2:TGID_X_EN: 1
; COMPUTE_PGM_RSRC2:TGID_Y_EN: 0
; COMPUTE_PGM_RSRC2:TGID_Z_EN: 0
; COMPUTE_PGM_RSRC2:TIDIG_COMP_CNT: 2
	.section	.text._ZN4RAJA34launch_new_reduce_global_fcn_fixedIZN8rajaperf4apps8MASS3DEA17runHipVariantImplILm64ELm0EEEvNS1_9VariantIDEEUlNS_14LaunchContextTINS_3hip33LaunchContextIndicesAndDimsPolicyINS7_14IndicesAndDimsILb0ELb0ELb0ELb0EEEEEEEE_Li64ENS_4expt15ForallParamPackIJEEEEEvT_T1_,"axG",@progbits,_ZN4RAJA34launch_new_reduce_global_fcn_fixedIZN8rajaperf4apps8MASS3DEA17runHipVariantImplILm64ELm0EEEvNS1_9VariantIDEEUlNS_14LaunchContextTINS_3hip33LaunchContextIndicesAndDimsPolicyINS7_14IndicesAndDimsILb0ELb0ELb0ELb0EEEEEEEE_Li64ENS_4expt15ForallParamPackIJEEEEEvT_T1_,comdat
	.protected	_ZN4RAJA34launch_new_reduce_global_fcn_fixedIZN8rajaperf4apps8MASS3DEA17runHipVariantImplILm64ELm0EEEvNS1_9VariantIDEEUlNS_14LaunchContextTINS_3hip33LaunchContextIndicesAndDimsPolicyINS7_14IndicesAndDimsILb0ELb0ELb0ELb0EEEEEEEE_Li64ENS_4expt15ForallParamPackIJEEEEEvT_T1_ ; -- Begin function _ZN4RAJA34launch_new_reduce_global_fcn_fixedIZN8rajaperf4apps8MASS3DEA17runHipVariantImplILm64ELm0EEEvNS1_9VariantIDEEUlNS_14LaunchContextTINS_3hip33LaunchContextIndicesAndDimsPolicyINS7_14IndicesAndDimsILb0ELb0ELb0ELb0EEEEEEEE_Li64ENS_4expt15ForallParamPackIJEEEEEvT_T1_
	.globl	_ZN4RAJA34launch_new_reduce_global_fcn_fixedIZN8rajaperf4apps8MASS3DEA17runHipVariantImplILm64ELm0EEEvNS1_9VariantIDEEUlNS_14LaunchContextTINS_3hip33LaunchContextIndicesAndDimsPolicyINS7_14IndicesAndDimsILb0ELb0ELb0ELb0EEEEEEEE_Li64ENS_4expt15ForallParamPackIJEEEEEvT_T1_
	.p2align	8
	.type	_ZN4RAJA34launch_new_reduce_global_fcn_fixedIZN8rajaperf4apps8MASS3DEA17runHipVariantImplILm64ELm0EEEvNS1_9VariantIDEEUlNS_14LaunchContextTINS_3hip33LaunchContextIndicesAndDimsPolicyINS7_14IndicesAndDimsILb0ELb0ELb0ELb0EEEEEEEE_Li64ENS_4expt15ForallParamPackIJEEEEEvT_T1_,@function
_ZN4RAJA34launch_new_reduce_global_fcn_fixedIZN8rajaperf4apps8MASS3DEA17runHipVariantImplILm64ELm0EEEvNS1_9VariantIDEEUlNS_14LaunchContextTINS_3hip33LaunchContextIndicesAndDimsPolicyINS7_14IndicesAndDimsILb0ELb0ELb0ELb0EEEEEEEE_Li64ENS_4expt15ForallParamPackIJEEEEEvT_T1_: ; @_ZN4RAJA34launch_new_reduce_global_fcn_fixedIZN8rajaperf4apps8MASS3DEA17runHipVariantImplILm64ELm0EEEvNS1_9VariantIDEEUlNS_14LaunchContextTINS_3hip33LaunchContextIndicesAndDimsPolicyINS7_14IndicesAndDimsILb0ELb0ELb0ELb0EEEEEEEE_Li64ENS_4expt15ForallParamPackIJEEEEEvT_T1_
; %bb.0:
	s_load_b256 s[4:11], s[0:1], 0x0
	s_wait_xcnt 0x0
	s_bfe_u32 s0, ttmp6, 0x4000c
	s_and_b32 s1, ttmp6, 15
	s_add_co_i32 s0, s0, 1
	s_getreg_b32 s2, hwreg(HW_REG_IB_STS2, 6, 4)
	s_mul_i32 s0, ttmp9, s0
	s_mov_b32 s13, 0
	s_add_co_i32 s1, s1, s0
	s_cmp_eq_u32 s2, 0
	s_cselect_b32 s12, ttmp9, s1
	s_wait_kmcnt 0x0
	v_cmp_le_i64_e64 s0, s[4:5], s[12:13]
	s_and_b32 vcc_lo, exec_lo, s0
	s_cbranch_vccnz .LBB1_57
; %bb.1:
	v_bfe_u32 v60, v0, 20, 10
	v_and_b32_e32 v62, 0x3ff, v0
	v_bfe_u32 v6, v0, 10, 10
	s_delay_alu instid0(VALU_DEP_3)
	v_cmp_eq_u32_e32 vcc_lo, 0, v60
	s_and_saveexec_b32 s2, vcc_lo
	s_cbranch_execz .LBB1_5
; %bb.2:
	v_cmp_gt_u32_e64 s0, 4, v62
	v_cmp_gt_u32_e64 s1, 5, v6
	s_and_b32 s0, s0, s1
	s_delay_alu instid0(SALU_CYCLE_1)
	s_and_b32 exec_lo, exec_lo, s0
	s_cbranch_execz .LBB1_5
; %bb.3:
	v_mul_u32_u24_e32 v2, 40, v62
	v_mov_b32_e32 v3, 0
	v_cmp_eq_u32_e64 s0, 0, v6
	s_delay_alu instid0(VALU_DEP_2) | instskip(SKIP_1) | instid1(VALU_DEP_1)
	v_add_nc_u64_e32 v[0:1], s[6:7], v[2:3]
	v_lshlrev_b32_e32 v2, 3, v6
	v_add_nc_u64_e32 v[2:3], v[0:1], v[2:3]
	global_load_b64 v[4:5], v[2:3], off
	s_wait_xcnt 0x0
	v_lshl_add_u32 v2, v62, 3, 0x3f0
	s_delay_alu instid0(VALU_DEP_1)
	v_lshl_add_u32 v3, v6, 5, v2
	s_wait_loadcnt 0x0
	ds_store_b64 v3, v[4:5]
	s_and_b32 exec_lo, exec_lo, s0
	s_cbranch_execz .LBB1_5
; %bb.4:
	global_load_b64 v[0:1], v[0:1], off offset:32
	s_wait_loadcnt 0x0
	ds_store_b64 v2, v[0:1] offset:128
.LBB1_5:
	s_or_b32 exec_lo, exec_lo, s2
	v_mov_b32_e32 v1, 0
	s_mov_b32 s6, exec_lo
	v_cmpx_gt_u32_e32 5, v62
	s_cbranch_execz .LBB1_20
; %bb.6:
	v_cmp_gt_u32_e64 s0, 5, v60
	v_cmp_eq_u32_e64 s3, 0, v6
	v_cmp_lt_u32_e64 s1, 4, v6
	v_mul_u32_u24_e32 v0, 0xc8, v60
	v_mul_u32_u24_e32 v2, 40, v6
	v_mov_b32_e32 v3, v1
	s_and_b32 s3, s3, s0
	s_mul_u64 s[4:5], s[12:13], 0x3e8
	s_mov_b32 s7, exec_lo
	v_cmpx_gt_u32_e32 5, v6
	s_cbranch_execz .LBB1_13
; %bb.7:
	v_mul_u32_u24_e32 v7, 0xc8, v62
	s_and_saveexec_b32 s2, s0
	s_cbranch_execz .LBB1_10
; %bb.8:
	v_dual_mov_b32 v5, 0 :: v_dual_lshlrev_b32 v4, 3, v62
	s_delay_alu instid0(VALU_DEP_1) | instskip(NEXT) | instid1(VALU_DEP_1)
	v_add_nc_u64_e32 v[4:5], s[8:9], v[4:5]
	v_add_nc_u64_e32 v[4:5], v[4:5], v[2:3]
	s_delay_alu instid0(VALU_DEP_1) | instskip(NEXT) | instid1(VALU_DEP_1)
	v_add_nc_u64_e32 v[4:5], s[4:5], v[4:5]
	v_add_nc_u64_e32 v[8:9], v[4:5], v[0:1]
	global_load_b64 v[10:11], v[8:9], off
	s_wait_xcnt 0x0
	v_mad_u32_u24 v8, v6, 40, v7
	s_delay_alu instid0(VALU_DEP_1)
	v_lshl_add_u32 v9, v60, 3, v8
	s_wait_loadcnt 0x0
	ds_store_b64 v9, v[10:11]
	s_and_b32 exec_lo, exec_lo, vcc_lo
	s_cbranch_execz .LBB1_10
; %bb.9:
	global_load_b64 v[4:5], v[4:5], off offset:800
	s_wait_loadcnt 0x0
	ds_store_b64 v8, v[4:5] offset:32
.LBB1_10:
	s_or_b32 exec_lo, exec_lo, s2
	s_delay_alu instid0(SALU_CYCLE_1)
	s_and_b32 exec_lo, exec_lo, s3
	s_cbranch_execz .LBB1_13
; %bb.11:
	v_dual_mov_b32 v5, 0 :: v_dual_lshlrev_b32 v4, 3, v62
	v_lshl_add_u32 v10, v60, 3, v7
	s_delay_alu instid0(VALU_DEP_2) | instskip(NEXT) | instid1(VALU_DEP_1)
	v_add_nc_u64_e32 v[4:5], s[8:9], v[4:5]
	v_add_nc_u64_e32 v[4:5], s[4:5], v[4:5]
	s_delay_alu instid0(VALU_DEP_1)
	v_add_nc_u64_e32 v[8:9], v[4:5], v[0:1]
	global_load_b64 v[8:9], v[8:9], off offset:160
	s_wait_loadcnt 0x0
	ds_store_b64 v10, v[8:9] offset:160
	s_and_b32 exec_lo, exec_lo, vcc_lo
	s_cbranch_execz .LBB1_13
; %bb.12:
	global_load_b64 v[4:5], v[4:5], off offset:960
	s_wait_loadcnt 0x0
	ds_store_b64 v7, v[4:5] offset:192
.LBB1_13:
	s_or_b32 exec_lo, exec_lo, s7
	v_cmp_eq_u32_e64 s2, 0, v62
	s_xor_b32 s1, s1, -1
	s_delay_alu instid0(SALU_CYCLE_1) | instskip(NEXT) | instid1(SALU_CYCLE_1)
	s_and_b32 s1, s2, s1
	s_and_b32 exec_lo, exec_lo, s1
	s_cbranch_execz .LBB1_20
; %bb.14:
	s_and_saveexec_b32 s1, s0
	s_cbranch_execz .LBB1_17
; %bb.15:
	v_add_nc_u64_e32 v[4:5], s[8:9], v[2:3]
	v_lshlrev_b32_e32 v3, 3, v60
	s_delay_alu instid0(VALU_DEP_1) | instskip(NEXT) | instid1(VALU_DEP_3)
	v_mad_u32_u24 v3, v6, 40, v3
	v_add_nc_u64_e32 v[4:5], s[4:5], v[4:5]
	s_delay_alu instid0(VALU_DEP_1)
	v_add_nc_u64_e32 v[8:9], v[4:5], v[0:1]
	global_load_b64 v[8:9], v[8:9], off offset:32
	s_wait_loadcnt 0x0
	ds_store_b64 v3, v[8:9] offset:800
	s_and_b32 exec_lo, exec_lo, vcc_lo
	s_cbranch_execz .LBB1_17
; %bb.16:
	global_load_b64 v[4:5], v[4:5], off offset:832
	s_wait_loadcnt 0x0
	ds_store_b64 v2, v[4:5] offset:832
.LBB1_17:
	s_or_b32 exec_lo, exec_lo, s1
	s_delay_alu instid0(SALU_CYCLE_1)
	s_and_b32 exec_lo, exec_lo, s3
	s_cbranch_execz .LBB1_20
; %bb.18:
	s_add_nc_u64 s[0:1], s[8:9], s[4:5]
	v_lshlrev_b32_e32 v2, 3, v60
	v_add_nc_u64_e32 v[0:1], s[0:1], v[0:1]
	global_load_b64 v[0:1], v[0:1], off offset:192
	s_wait_loadcnt 0x0
	ds_store_b64 v2, v[0:1] offset:960
	s_and_b32 exec_lo, exec_lo, vcc_lo
	s_cbranch_execz .LBB1_20
; %bb.19:
	s_load_b64 s[0:1], s[0:1], 0x3e0
	v_mov_b32_e32 v2, 0
	s_wait_kmcnt 0x0
	v_mov_b64_e32 v[0:1], s[0:1]
	ds_store_b64 v2, v[0:1] offset:992
.LBB1_20:
	s_or_b32 exec_lo, exec_lo, s6
	s_wait_dscnt 0x0
	s_barrier_signal -1
	s_barrier_wait -1
	s_mov_b32 s0, exec_lo
	v_cmpx_gt_u32_e32 4, v62
	s_cbranch_execz .LBB1_57
; %bb.21:
	v_cmp_gt_u32_e32 vcc_lo, 4, v6
	s_and_b32 exec_lo, exec_lo, vcc_lo
	s_cbranch_execz .LBB1_57
; %bb.22:
	v_cmp_gt_u32_e32 vcc_lo, 4, v60
	s_and_b32 exec_lo, exec_lo, vcc_lo
	s_cbranch_execz .LBB1_57
; %bb.23:
	v_dual_mov_b32 v61, 0 :: v_dual_lshlrev_b32 v12, 3, v62
	v_dual_lshlrev_b32 v52, 3, v6 :: v_dual_lshlrev_b32 v32, 3, v60
	s_delay_alu instid0(VALU_DEP_2)
	v_dual_mov_b32 v13, v61 :: v_dual_lshlrev_b32 v28, 5, v6
	v_dual_mov_b32 v29, v61 :: v_dual_lshlrev_b32 v60, 7, v60
	ds_load_2addr_b64 v[0:3], v32 offset0:126 offset1:130
	ds_load_b128 v[4:7], v61 offset:1008
	ds_load_b128 v[8:11], v61 offset:1024
	s_lshl_b64 s[0:1], s[12:13], 15
	v_add_nc_u64_e32 v[30:31], s[10:11], v[12:13]
	ds_load_b128 v[12:15], v61 offset:1040
	ds_load_b128 v[16:19], v61 offset:1056
	ds_load_2addr_b64 v[20:23], v32 offset0:134 offset1:138
	ds_load_2addr_b64 v[24:27], v52 offset0:126 offset1:130
	ds_load_b64 v[56:57], v32 offset:1136
	ds_load_b64 v[58:59], v52 offset:1136
	v_lshl_add_u32 v68, v62, 3, 0x3f0
	s_movk_i32 s4, 0x3f0
	v_add_nc_u64_e32 v[64:65], v[30:31], v[28:29]
	ds_load_b128 v[28:31], v61 offset:1072
	ds_load_b128 v[32:35], v61 offset:1088
	;; [unrolled: 1-line block ×6, first 2 shown]
	ds_load_2addr_b64 v[52:55], v52 offset0:134 offset1:138
	v_add_nc_u64_e32 v[64:65], s[0:1], v[64:65]
	s_mov_b64 s[0:1], 0
	s_delay_alu instid0(VALU_DEP_1)
	v_add_nc_u64_e32 v[60:61], v[64:65], v[60:61]
.LBB1_24:                               ; =>This Loop Header: Depth=1
                                        ;     Child Loop BB1_25 Depth 2
                                        ;     Child Loop BB1_27 Depth 2
	;; [unrolled: 1-line block ×16, first 2 shown]
	v_mov_b64_e32 v[64:65], 0
	s_wait_xcnt 0x0
	v_mov_b32_e32 v62, v68
	s_mov_b64 s[2:3], 5
	s_mov_b32 s5, 0
	s_mov_b32 s6, s4
.LBB1_25:                               ;   Parent Loop BB1_24 Depth=1
                                        ; =>  This Inner Loop Header: Depth=2
	ds_load_b64 v[66:67], v62
	v_dual_mov_b32 v63, s6 :: v_dual_add_nc_u32 v62, 32, v62
	s_add_nc_u64 s[2:3], s[2:3], -1
	s_add_co_i32 s6, s6, 32
	ds_load_b64 v[70:71], v63
	v_mov_b32_e32 v63, s5
	s_addk_co_i32 s5, 0xc8
	s_cmp_lg_u64 s[2:3], 0
	s_wait_dscnt 0x0
	v_mul_f64_e32 v[66:67], v[66:67], v[70:71]
	s_delay_alu instid0(VALU_DEP_1) | instskip(NEXT) | instid1(VALU_DEP_1)
	v_mul_f64_e32 v[70:71], v[24:25], v[66:67]
	v_mul_f64_e32 v[74:75], v[4:5], v[70:71]
	s_delay_alu instid0(VALU_DEP_1) | instskip(NEXT) | instid1(VALU_DEP_1)
	v_mul_f64_e32 v[70:71], v[0:1], v[74:75]
	v_mul_f64_e32 v[76:77], v[4:5], v[70:71]
	ds_load_2addr_b64 v[70:73], v63 offset1:1
	s_wait_dscnt 0x0
	v_fmac_f64_e32 v[64:65], v[70:71], v[76:77]
	v_mul_f64_e32 v[70:71], v[2:3], v[74:75]
	s_delay_alu instid0(VALU_DEP_1) | instskip(NEXT) | instid1(VALU_DEP_1)
	v_mul_f64_e32 v[70:71], v[12:13], v[70:71]
	v_fmac_f64_e32 v[64:65], v[72:73], v[70:71]
	v_mul_f64_e32 v[70:71], v[20:21], v[74:75]
	s_delay_alu instid0(VALU_DEP_1) | instskip(SKIP_4) | instid1(VALU_DEP_1)
	v_mul_f64_e32 v[76:77], v[28:29], v[70:71]
	ds_load_2addr_b64 v[70:73], v63 offset0:2 offset1:3
	s_wait_dscnt 0x0
	v_fmac_f64_e32 v[64:65], v[70:71], v[76:77]
	v_mul_f64_e32 v[70:71], v[22:23], v[74:75]
	v_mul_f64_e32 v[70:71], v[36:37], v[70:71]
	s_delay_alu instid0(VALU_DEP_1) | instskip(SKIP_1) | instid1(VALU_DEP_1)
	v_fmac_f64_e32 v[64:65], v[72:73], v[70:71]
	v_mul_f64_e32 v[70:71], v[56:57], v[74:75]
	v_mul_f64_e32 v[74:75], v[44:45], v[70:71]
	ds_load_2addr_b64 v[70:73], v63 offset0:4 offset1:5
	s_wait_dscnt 0x0
	v_fmac_f64_e32 v[64:65], v[74:75], v[70:71]
	v_mul_f64_e32 v[70:71], v[26:27], v[66:67]
	s_delay_alu instid0(VALU_DEP_1) | instskip(NEXT) | instid1(VALU_DEP_1)
	v_mul_f64_e32 v[74:75], v[12:13], v[70:71]
	v_mul_f64_e32 v[70:71], v[0:1], v[74:75]
	s_delay_alu instid0(VALU_DEP_1) | instskip(NEXT) | instid1(VALU_DEP_1)
	v_mul_f64_e32 v[70:71], v[4:5], v[70:71]
	v_fmac_f64_e32 v[64:65], v[70:71], v[72:73]
	v_mul_f64_e32 v[70:71], v[2:3], v[74:75]
	s_delay_alu instid0(VALU_DEP_1) | instskip(SKIP_4) | instid1(VALU_DEP_1)
	v_mul_f64_e32 v[76:77], v[12:13], v[70:71]
	ds_load_2addr_b64 v[70:73], v63 offset0:6 offset1:7
	s_wait_dscnt 0x0
	v_fmac_f64_e32 v[64:65], v[76:77], v[70:71]
	v_mul_f64_e32 v[70:71], v[20:21], v[74:75]
	v_mul_f64_e32 v[70:71], v[28:29], v[70:71]
	s_delay_alu instid0(VALU_DEP_1) | instskip(SKIP_1) | instid1(VALU_DEP_1)
	v_fmac_f64_e32 v[64:65], v[70:71], v[72:73]
	v_mul_f64_e32 v[70:71], v[22:23], v[74:75]
	v_mul_f64_e32 v[76:77], v[36:37], v[70:71]
	ds_load_2addr_b64 v[70:73], v63 offset0:8 offset1:9
	s_wait_dscnt 0x0
	v_fmac_f64_e32 v[64:65], v[76:77], v[70:71]
	v_mul_f64_e32 v[70:71], v[56:57], v[74:75]
	s_delay_alu instid0(VALU_DEP_1) | instskip(NEXT) | instid1(VALU_DEP_1)
	v_mul_f64_e32 v[70:71], v[44:45], v[70:71]
	v_fmac_f64_e32 v[64:65], v[70:71], v[72:73]
	v_mul_f64_e32 v[70:71], v[52:53], v[66:67]
	s_delay_alu instid0(VALU_DEP_1) | instskip(NEXT) | instid1(VALU_DEP_1)
	v_mul_f64_e32 v[74:75], v[28:29], v[70:71]
	v_mul_f64_e32 v[70:71], v[0:1], v[74:75]
	s_delay_alu instid0(VALU_DEP_1) | instskip(SKIP_4) | instid1(VALU_DEP_1)
	v_mul_f64_e32 v[76:77], v[4:5], v[70:71]
	ds_load_2addr_b64 v[70:73], v63 offset0:10 offset1:11
	s_wait_dscnt 0x0
	v_fmac_f64_e32 v[64:65], v[76:77], v[70:71]
	v_mul_f64_e32 v[70:71], v[2:3], v[74:75]
	v_mul_f64_e32 v[70:71], v[12:13], v[70:71]
	s_delay_alu instid0(VALU_DEP_1) | instskip(SKIP_1) | instid1(VALU_DEP_1)
	v_fmac_f64_e32 v[64:65], v[70:71], v[72:73]
	v_mul_f64_e32 v[70:71], v[20:21], v[74:75]
	v_mul_f64_e32 v[76:77], v[28:29], v[70:71]
	ds_load_2addr_b64 v[70:73], v63 offset0:12 offset1:13
	s_wait_dscnt 0x0
	v_fmac_f64_e32 v[64:65], v[76:77], v[70:71]
	v_mul_f64_e32 v[70:71], v[22:23], v[74:75]
	s_delay_alu instid0(VALU_DEP_1) | instskip(NEXT) | instid1(VALU_DEP_1)
	v_mul_f64_e32 v[70:71], v[36:37], v[70:71]
	v_fmac_f64_e32 v[64:65], v[70:71], v[72:73]
	v_mul_f64_e32 v[70:71], v[56:57], v[74:75]
	s_delay_alu instid0(VALU_DEP_1)
	v_mul_f64_e32 v[74:75], v[44:45], v[70:71]
	ds_load_2addr_b64 v[70:73], v63 offset0:14 offset1:15
	s_wait_dscnt 0x0
	v_fmac_f64_e32 v[64:65], v[74:75], v[70:71]
	v_mul_f64_e32 v[70:71], v[54:55], v[66:67]
	v_mul_f64_e32 v[66:67], v[58:59], v[66:67]
	s_delay_alu instid0(VALU_DEP_2) | instskip(NEXT) | instid1(VALU_DEP_2)
	v_mul_f64_e32 v[74:75], v[36:37], v[70:71]
	v_mul_f64_e32 v[66:67], v[44:45], v[66:67]
	s_delay_alu instid0(VALU_DEP_2) | instskip(NEXT) | instid1(VALU_DEP_1)
	v_mul_f64_e32 v[70:71], v[0:1], v[74:75]
	v_mul_f64_e32 v[70:71], v[4:5], v[70:71]
	s_delay_alu instid0(VALU_DEP_1) | instskip(SKIP_1) | instid1(VALU_DEP_1)
	v_fmac_f64_e32 v[64:65], v[70:71], v[72:73]
	v_mul_f64_e32 v[70:71], v[2:3], v[74:75]
	v_mul_f64_e32 v[76:77], v[12:13], v[70:71]
	ds_load_2addr_b64 v[70:73], v63 offset0:16 offset1:17
	s_wait_dscnt 0x0
	v_fmac_f64_e32 v[64:65], v[76:77], v[70:71]
	v_mul_f64_e32 v[70:71], v[20:21], v[74:75]
	s_delay_alu instid0(VALU_DEP_1) | instskip(NEXT) | instid1(VALU_DEP_1)
	v_mul_f64_e32 v[70:71], v[28:29], v[70:71]
	v_fmac_f64_e32 v[64:65], v[70:71], v[72:73]
	v_mul_f64_e32 v[70:71], v[22:23], v[74:75]
	s_delay_alu instid0(VALU_DEP_1) | instskip(SKIP_4) | instid1(VALU_DEP_1)
	v_mul_f64_e32 v[76:77], v[36:37], v[70:71]
	ds_load_2addr_b64 v[70:73], v63 offset0:18 offset1:19
	s_wait_dscnt 0x0
	v_fmac_f64_e32 v[64:65], v[76:77], v[70:71]
	v_mul_f64_e32 v[70:71], v[56:57], v[74:75]
	v_mul_f64_e32 v[70:71], v[44:45], v[70:71]
	s_delay_alu instid0(VALU_DEP_1) | instskip(SKIP_1) | instid1(VALU_DEP_1)
	v_fmac_f64_e32 v[64:65], v[70:71], v[72:73]
	v_mul_f64_e32 v[70:71], v[0:1], v[66:67]
	v_mul_f64_e32 v[74:75], v[4:5], v[70:71]
	ds_load_2addr_b64 v[70:73], v63 offset0:20 offset1:21
	s_wait_dscnt 0x0
	v_fmac_f64_e32 v[64:65], v[74:75], v[70:71]
	v_mul_f64_e32 v[70:71], v[2:3], v[66:67]
	s_delay_alu instid0(VALU_DEP_1) | instskip(NEXT) | instid1(VALU_DEP_1)
	v_mul_f64_e32 v[70:71], v[12:13], v[70:71]
	v_fmac_f64_e32 v[64:65], v[70:71], v[72:73]
	v_mul_f64_e32 v[70:71], v[20:21], v[66:67]
	s_delay_alu instid0(VALU_DEP_1)
	v_mul_f64_e32 v[74:75], v[28:29], v[70:71]
	ds_load_2addr_b64 v[70:73], v63 offset0:22 offset1:23
	s_wait_dscnt 0x0
	v_fmac_f64_e32 v[64:65], v[74:75], v[70:71]
	v_mul_f64_e32 v[70:71], v[22:23], v[66:67]
	v_mul_f64_e32 v[66:67], v[56:57], v[66:67]
	s_delay_alu instid0(VALU_DEP_2) | instskip(NEXT) | instid1(VALU_DEP_2)
	v_mul_f64_e32 v[70:71], v[36:37], v[70:71]
	v_mul_f64_e32 v[66:67], v[44:45], v[66:67]
	s_delay_alu instid0(VALU_DEP_2)
	v_fmac_f64_e32 v[64:65], v[70:71], v[72:73]
	ds_load_b64 v[70:71], v63 offset:192
	s_wait_dscnt 0x0
	v_fmac_f64_e32 v[64:65], v[66:67], v[70:71]
	s_cbranch_scc1 .LBB1_25
; %bb.26:                               ;   in Loop: Header=BB1_24 Depth=1
	s_lshl_b64 s[2:3], s[0:1], 9
	v_mov_b64_e32 v[66:67], 0
	v_add_nc_u64_e32 v[62:63], s[2:3], v[60:61]
	s_mov_b64 s[2:3], 5
	s_mov_b32 s5, 0
	s_mov_b32 s6, 0
	global_store_b64 v[62:63], v[64:65], off
.LBB1_27:                               ;   Parent Loop BB1_24 Depth=1
                                        ; =>  This Inner Loop Header: Depth=2
	s_add_co_i32 s7, s4, s5
	s_wait_xcnt 0x0
	v_dual_mov_b32 v69, s7 :: v_dual_add_nc_u32 v64, s5, v68
	s_add_nc_u64 s[2:3], s[2:3], -1
	s_add_co_i32 s5, s5, 32
	ds_load_b64 v[64:65], v64
	ds_load_b64 v[70:71], v69
	v_mov_b32_e32 v69, s6
	s_addk_co_i32 s6, 0xc8
	s_cmp_lg_u64 s[2:3], 0
	s_wait_dscnt 0x0
	v_mul_f64_e32 v[64:65], v[64:65], v[70:71]
	s_delay_alu instid0(VALU_DEP_1) | instskip(NEXT) | instid1(VALU_DEP_1)
	v_mul_f64_e32 v[70:71], v[24:25], v[64:65]
	v_mul_f64_e32 v[74:75], v[4:5], v[70:71]
	s_delay_alu instid0(VALU_DEP_1) | instskip(NEXT) | instid1(VALU_DEP_1)
	v_mul_f64_e32 v[70:71], v[0:1], v[74:75]
	v_mul_f64_e32 v[76:77], v[6:7], v[70:71]
	ds_load_2addr_b64 v[70:73], v69 offset1:1
	s_wait_dscnt 0x0
	v_fmac_f64_e32 v[66:67], v[70:71], v[76:77]
	v_mul_f64_e32 v[70:71], v[2:3], v[74:75]
	s_delay_alu instid0(VALU_DEP_1) | instskip(NEXT) | instid1(VALU_DEP_1)
	v_mul_f64_e32 v[70:71], v[14:15], v[70:71]
	v_fmac_f64_e32 v[66:67], v[72:73], v[70:71]
	v_mul_f64_e32 v[70:71], v[20:21], v[74:75]
	s_delay_alu instid0(VALU_DEP_1) | instskip(SKIP_4) | instid1(VALU_DEP_1)
	v_mul_f64_e32 v[76:77], v[30:31], v[70:71]
	ds_load_2addr_b64 v[70:73], v69 offset0:2 offset1:3
	s_wait_dscnt 0x0
	v_fmac_f64_e32 v[66:67], v[70:71], v[76:77]
	v_mul_f64_e32 v[70:71], v[22:23], v[74:75]
	v_mul_f64_e32 v[70:71], v[38:39], v[70:71]
	s_delay_alu instid0(VALU_DEP_1) | instskip(SKIP_1) | instid1(VALU_DEP_1)
	v_fmac_f64_e32 v[66:67], v[72:73], v[70:71]
	v_mul_f64_e32 v[70:71], v[56:57], v[74:75]
	v_mul_f64_e32 v[74:75], v[46:47], v[70:71]
	ds_load_2addr_b64 v[70:73], v69 offset0:4 offset1:5
	s_wait_dscnt 0x0
	v_fmac_f64_e32 v[66:67], v[74:75], v[70:71]
	v_mul_f64_e32 v[70:71], v[26:27], v[64:65]
	s_delay_alu instid0(VALU_DEP_1) | instskip(NEXT) | instid1(VALU_DEP_1)
	v_mul_f64_e32 v[74:75], v[12:13], v[70:71]
	v_mul_f64_e32 v[70:71], v[0:1], v[74:75]
	s_delay_alu instid0(VALU_DEP_1) | instskip(NEXT) | instid1(VALU_DEP_1)
	v_mul_f64_e32 v[70:71], v[6:7], v[70:71]
	v_fmac_f64_e32 v[66:67], v[70:71], v[72:73]
	v_mul_f64_e32 v[70:71], v[2:3], v[74:75]
	s_delay_alu instid0(VALU_DEP_1) | instskip(SKIP_4) | instid1(VALU_DEP_1)
	v_mul_f64_e32 v[76:77], v[14:15], v[70:71]
	ds_load_2addr_b64 v[70:73], v69 offset0:6 offset1:7
	s_wait_dscnt 0x0
	v_fmac_f64_e32 v[66:67], v[76:77], v[70:71]
	v_mul_f64_e32 v[70:71], v[20:21], v[74:75]
	v_mul_f64_e32 v[70:71], v[30:31], v[70:71]
	s_delay_alu instid0(VALU_DEP_1) | instskip(SKIP_1) | instid1(VALU_DEP_1)
	v_fmac_f64_e32 v[66:67], v[70:71], v[72:73]
	v_mul_f64_e32 v[70:71], v[22:23], v[74:75]
	v_mul_f64_e32 v[76:77], v[38:39], v[70:71]
	ds_load_2addr_b64 v[70:73], v69 offset0:8 offset1:9
	s_wait_dscnt 0x0
	v_fmac_f64_e32 v[66:67], v[76:77], v[70:71]
	v_mul_f64_e32 v[70:71], v[56:57], v[74:75]
	s_delay_alu instid0(VALU_DEP_1) | instskip(NEXT) | instid1(VALU_DEP_1)
	v_mul_f64_e32 v[70:71], v[46:47], v[70:71]
	v_fmac_f64_e32 v[66:67], v[70:71], v[72:73]
	v_mul_f64_e32 v[70:71], v[52:53], v[64:65]
	s_delay_alu instid0(VALU_DEP_1) | instskip(NEXT) | instid1(VALU_DEP_1)
	v_mul_f64_e32 v[74:75], v[28:29], v[70:71]
	v_mul_f64_e32 v[70:71], v[0:1], v[74:75]
	s_delay_alu instid0(VALU_DEP_1) | instskip(SKIP_4) | instid1(VALU_DEP_1)
	v_mul_f64_e32 v[76:77], v[6:7], v[70:71]
	ds_load_2addr_b64 v[70:73], v69 offset0:10 offset1:11
	s_wait_dscnt 0x0
	v_fmac_f64_e32 v[66:67], v[76:77], v[70:71]
	v_mul_f64_e32 v[70:71], v[2:3], v[74:75]
	v_mul_f64_e32 v[70:71], v[14:15], v[70:71]
	s_delay_alu instid0(VALU_DEP_1) | instskip(SKIP_1) | instid1(VALU_DEP_1)
	v_fmac_f64_e32 v[66:67], v[70:71], v[72:73]
	v_mul_f64_e32 v[70:71], v[20:21], v[74:75]
	v_mul_f64_e32 v[76:77], v[30:31], v[70:71]
	ds_load_2addr_b64 v[70:73], v69 offset0:12 offset1:13
	s_wait_dscnt 0x0
	v_fmac_f64_e32 v[66:67], v[76:77], v[70:71]
	v_mul_f64_e32 v[70:71], v[22:23], v[74:75]
	s_delay_alu instid0(VALU_DEP_1) | instskip(NEXT) | instid1(VALU_DEP_1)
	v_mul_f64_e32 v[70:71], v[38:39], v[70:71]
	v_fmac_f64_e32 v[66:67], v[70:71], v[72:73]
	v_mul_f64_e32 v[70:71], v[56:57], v[74:75]
	s_delay_alu instid0(VALU_DEP_1)
	v_mul_f64_e32 v[74:75], v[46:47], v[70:71]
	ds_load_2addr_b64 v[70:73], v69 offset0:14 offset1:15
	s_wait_dscnt 0x0
	v_fmac_f64_e32 v[66:67], v[74:75], v[70:71]
	v_mul_f64_e32 v[70:71], v[54:55], v[64:65]
	v_mul_f64_e32 v[64:65], v[58:59], v[64:65]
	s_delay_alu instid0(VALU_DEP_2) | instskip(NEXT) | instid1(VALU_DEP_2)
	v_mul_f64_e32 v[74:75], v[36:37], v[70:71]
	v_mul_f64_e32 v[64:65], v[44:45], v[64:65]
	s_delay_alu instid0(VALU_DEP_2) | instskip(NEXT) | instid1(VALU_DEP_1)
	v_mul_f64_e32 v[70:71], v[0:1], v[74:75]
	v_mul_f64_e32 v[70:71], v[6:7], v[70:71]
	s_delay_alu instid0(VALU_DEP_1) | instskip(SKIP_1) | instid1(VALU_DEP_1)
	v_fmac_f64_e32 v[66:67], v[70:71], v[72:73]
	v_mul_f64_e32 v[70:71], v[2:3], v[74:75]
	v_mul_f64_e32 v[76:77], v[14:15], v[70:71]
	ds_load_2addr_b64 v[70:73], v69 offset0:16 offset1:17
	s_wait_dscnt 0x0
	v_fmac_f64_e32 v[66:67], v[76:77], v[70:71]
	v_mul_f64_e32 v[70:71], v[20:21], v[74:75]
	s_delay_alu instid0(VALU_DEP_1) | instskip(NEXT) | instid1(VALU_DEP_1)
	v_mul_f64_e32 v[70:71], v[30:31], v[70:71]
	v_fmac_f64_e32 v[66:67], v[70:71], v[72:73]
	v_mul_f64_e32 v[70:71], v[22:23], v[74:75]
	s_delay_alu instid0(VALU_DEP_1) | instskip(SKIP_4) | instid1(VALU_DEP_1)
	v_mul_f64_e32 v[76:77], v[38:39], v[70:71]
	ds_load_2addr_b64 v[70:73], v69 offset0:18 offset1:19
	s_wait_dscnt 0x0
	v_fmac_f64_e32 v[66:67], v[76:77], v[70:71]
	v_mul_f64_e32 v[70:71], v[56:57], v[74:75]
	v_mul_f64_e32 v[70:71], v[46:47], v[70:71]
	s_delay_alu instid0(VALU_DEP_1) | instskip(SKIP_1) | instid1(VALU_DEP_1)
	v_fmac_f64_e32 v[66:67], v[70:71], v[72:73]
	v_mul_f64_e32 v[70:71], v[0:1], v[64:65]
	v_mul_f64_e32 v[74:75], v[6:7], v[70:71]
	ds_load_2addr_b64 v[70:73], v69 offset0:20 offset1:21
	s_wait_dscnt 0x0
	v_fmac_f64_e32 v[66:67], v[74:75], v[70:71]
	v_mul_f64_e32 v[70:71], v[2:3], v[64:65]
	s_delay_alu instid0(VALU_DEP_1) | instskip(NEXT) | instid1(VALU_DEP_1)
	v_mul_f64_e32 v[70:71], v[14:15], v[70:71]
	v_fmac_f64_e32 v[66:67], v[70:71], v[72:73]
	v_mul_f64_e32 v[70:71], v[20:21], v[64:65]
	s_delay_alu instid0(VALU_DEP_1)
	v_mul_f64_e32 v[74:75], v[30:31], v[70:71]
	ds_load_2addr_b64 v[70:73], v69 offset0:22 offset1:23
	s_wait_dscnt 0x0
	v_fmac_f64_e32 v[66:67], v[74:75], v[70:71]
	v_mul_f64_e32 v[70:71], v[22:23], v[64:65]
	v_mul_f64_e32 v[64:65], v[56:57], v[64:65]
	s_delay_alu instid0(VALU_DEP_2) | instskip(NEXT) | instid1(VALU_DEP_2)
	v_mul_f64_e32 v[70:71], v[38:39], v[70:71]
	v_mul_f64_e32 v[64:65], v[46:47], v[64:65]
	s_delay_alu instid0(VALU_DEP_2)
	v_fmac_f64_e32 v[66:67], v[70:71], v[72:73]
	ds_load_b64 v[70:71], v69 offset:192
	s_wait_dscnt 0x0
	v_fmac_f64_e32 v[66:67], v[64:65], v[70:71]
	s_cbranch_scc1 .LBB1_27
; %bb.28:                               ;   in Loop: Header=BB1_24 Depth=1
	v_mov_b64_e32 v[64:65], 0
	s_mov_b64 s[2:3], 5
	s_mov_b32 s5, 0
	s_mov_b32 s6, 0
	global_store_b64 v[62:63], v[66:67], off offset:8192
.LBB1_29:                               ;   Parent Loop BB1_24 Depth=1
                                        ; =>  This Inner Loop Header: Depth=2
	s_add_co_i32 s7, s4, s5
	s_wait_xcnt 0x0
	v_dual_mov_b32 v69, s7 :: v_dual_add_nc_u32 v66, s5, v68
	s_add_nc_u64 s[2:3], s[2:3], -1
	s_add_co_i32 s5, s5, 32
	ds_load_b64 v[66:67], v66
	ds_load_b64 v[70:71], v69
	v_mov_b32_e32 v69, s6
	s_addk_co_i32 s6, 0xc8
	s_cmp_lg_u64 s[2:3], 0
	s_wait_dscnt 0x0
	v_mul_f64_e32 v[66:67], v[66:67], v[70:71]
	s_delay_alu instid0(VALU_DEP_1) | instskip(NEXT) | instid1(VALU_DEP_1)
	v_mul_f64_e32 v[70:71], v[24:25], v[66:67]
	v_mul_f64_e32 v[74:75], v[4:5], v[70:71]
	s_delay_alu instid0(VALU_DEP_1) | instskip(NEXT) | instid1(VALU_DEP_1)
	v_mul_f64_e32 v[70:71], v[0:1], v[74:75]
	v_mul_f64_e32 v[76:77], v[8:9], v[70:71]
	ds_load_2addr_b64 v[70:73], v69 offset1:1
	s_wait_dscnt 0x0
	v_fmac_f64_e32 v[64:65], v[70:71], v[76:77]
	v_mul_f64_e32 v[70:71], v[2:3], v[74:75]
	s_delay_alu instid0(VALU_DEP_1) | instskip(NEXT) | instid1(VALU_DEP_1)
	v_mul_f64_e32 v[70:71], v[16:17], v[70:71]
	v_fmac_f64_e32 v[64:65], v[72:73], v[70:71]
	v_mul_f64_e32 v[70:71], v[20:21], v[74:75]
	s_delay_alu instid0(VALU_DEP_1) | instskip(SKIP_4) | instid1(VALU_DEP_1)
	v_mul_f64_e32 v[76:77], v[32:33], v[70:71]
	ds_load_2addr_b64 v[70:73], v69 offset0:2 offset1:3
	s_wait_dscnt 0x0
	v_fmac_f64_e32 v[64:65], v[70:71], v[76:77]
	v_mul_f64_e32 v[70:71], v[22:23], v[74:75]
	v_mul_f64_e32 v[70:71], v[40:41], v[70:71]
	s_delay_alu instid0(VALU_DEP_1) | instskip(SKIP_1) | instid1(VALU_DEP_1)
	v_fmac_f64_e32 v[64:65], v[72:73], v[70:71]
	v_mul_f64_e32 v[70:71], v[56:57], v[74:75]
	v_mul_f64_e32 v[74:75], v[48:49], v[70:71]
	ds_load_2addr_b64 v[70:73], v69 offset0:4 offset1:5
	s_wait_dscnt 0x0
	v_fmac_f64_e32 v[64:65], v[74:75], v[70:71]
	v_mul_f64_e32 v[70:71], v[26:27], v[66:67]
	s_delay_alu instid0(VALU_DEP_1) | instskip(NEXT) | instid1(VALU_DEP_1)
	v_mul_f64_e32 v[74:75], v[12:13], v[70:71]
	v_mul_f64_e32 v[70:71], v[0:1], v[74:75]
	s_delay_alu instid0(VALU_DEP_1) | instskip(NEXT) | instid1(VALU_DEP_1)
	v_mul_f64_e32 v[70:71], v[8:9], v[70:71]
	v_fmac_f64_e32 v[64:65], v[70:71], v[72:73]
	v_mul_f64_e32 v[70:71], v[2:3], v[74:75]
	s_delay_alu instid0(VALU_DEP_1) | instskip(SKIP_4) | instid1(VALU_DEP_1)
	v_mul_f64_e32 v[76:77], v[16:17], v[70:71]
	ds_load_2addr_b64 v[70:73], v69 offset0:6 offset1:7
	s_wait_dscnt 0x0
	v_fmac_f64_e32 v[64:65], v[76:77], v[70:71]
	v_mul_f64_e32 v[70:71], v[20:21], v[74:75]
	v_mul_f64_e32 v[70:71], v[32:33], v[70:71]
	s_delay_alu instid0(VALU_DEP_1) | instskip(SKIP_1) | instid1(VALU_DEP_1)
	v_fmac_f64_e32 v[64:65], v[70:71], v[72:73]
	v_mul_f64_e32 v[70:71], v[22:23], v[74:75]
	v_mul_f64_e32 v[76:77], v[40:41], v[70:71]
	ds_load_2addr_b64 v[70:73], v69 offset0:8 offset1:9
	s_wait_dscnt 0x0
	v_fmac_f64_e32 v[64:65], v[76:77], v[70:71]
	v_mul_f64_e32 v[70:71], v[56:57], v[74:75]
	s_delay_alu instid0(VALU_DEP_1) | instskip(NEXT) | instid1(VALU_DEP_1)
	v_mul_f64_e32 v[70:71], v[48:49], v[70:71]
	v_fmac_f64_e32 v[64:65], v[70:71], v[72:73]
	v_mul_f64_e32 v[70:71], v[52:53], v[66:67]
	s_delay_alu instid0(VALU_DEP_1) | instskip(NEXT) | instid1(VALU_DEP_1)
	v_mul_f64_e32 v[74:75], v[28:29], v[70:71]
	v_mul_f64_e32 v[70:71], v[0:1], v[74:75]
	s_delay_alu instid0(VALU_DEP_1) | instskip(SKIP_4) | instid1(VALU_DEP_1)
	v_mul_f64_e32 v[76:77], v[8:9], v[70:71]
	ds_load_2addr_b64 v[70:73], v69 offset0:10 offset1:11
	s_wait_dscnt 0x0
	v_fmac_f64_e32 v[64:65], v[76:77], v[70:71]
	v_mul_f64_e32 v[70:71], v[2:3], v[74:75]
	v_mul_f64_e32 v[70:71], v[16:17], v[70:71]
	s_delay_alu instid0(VALU_DEP_1) | instskip(SKIP_1) | instid1(VALU_DEP_1)
	v_fmac_f64_e32 v[64:65], v[70:71], v[72:73]
	v_mul_f64_e32 v[70:71], v[20:21], v[74:75]
	v_mul_f64_e32 v[76:77], v[32:33], v[70:71]
	ds_load_2addr_b64 v[70:73], v69 offset0:12 offset1:13
	s_wait_dscnt 0x0
	v_fmac_f64_e32 v[64:65], v[76:77], v[70:71]
	v_mul_f64_e32 v[70:71], v[22:23], v[74:75]
	s_delay_alu instid0(VALU_DEP_1) | instskip(NEXT) | instid1(VALU_DEP_1)
	v_mul_f64_e32 v[70:71], v[40:41], v[70:71]
	v_fmac_f64_e32 v[64:65], v[70:71], v[72:73]
	v_mul_f64_e32 v[70:71], v[56:57], v[74:75]
	s_delay_alu instid0(VALU_DEP_1)
	v_mul_f64_e32 v[74:75], v[48:49], v[70:71]
	ds_load_2addr_b64 v[70:73], v69 offset0:14 offset1:15
	s_wait_dscnt 0x0
	v_fmac_f64_e32 v[64:65], v[74:75], v[70:71]
	v_mul_f64_e32 v[70:71], v[54:55], v[66:67]
	v_mul_f64_e32 v[66:67], v[58:59], v[66:67]
	s_delay_alu instid0(VALU_DEP_2) | instskip(NEXT) | instid1(VALU_DEP_2)
	v_mul_f64_e32 v[74:75], v[36:37], v[70:71]
	v_mul_f64_e32 v[66:67], v[44:45], v[66:67]
	s_delay_alu instid0(VALU_DEP_2) | instskip(NEXT) | instid1(VALU_DEP_1)
	v_mul_f64_e32 v[70:71], v[0:1], v[74:75]
	v_mul_f64_e32 v[70:71], v[8:9], v[70:71]
	s_delay_alu instid0(VALU_DEP_1) | instskip(SKIP_1) | instid1(VALU_DEP_1)
	v_fmac_f64_e32 v[64:65], v[70:71], v[72:73]
	v_mul_f64_e32 v[70:71], v[2:3], v[74:75]
	v_mul_f64_e32 v[76:77], v[16:17], v[70:71]
	ds_load_2addr_b64 v[70:73], v69 offset0:16 offset1:17
	s_wait_dscnt 0x0
	v_fmac_f64_e32 v[64:65], v[76:77], v[70:71]
	v_mul_f64_e32 v[70:71], v[20:21], v[74:75]
	s_delay_alu instid0(VALU_DEP_1) | instskip(NEXT) | instid1(VALU_DEP_1)
	v_mul_f64_e32 v[70:71], v[32:33], v[70:71]
	v_fmac_f64_e32 v[64:65], v[70:71], v[72:73]
	v_mul_f64_e32 v[70:71], v[22:23], v[74:75]
	s_delay_alu instid0(VALU_DEP_1) | instskip(SKIP_4) | instid1(VALU_DEP_1)
	v_mul_f64_e32 v[76:77], v[40:41], v[70:71]
	ds_load_2addr_b64 v[70:73], v69 offset0:18 offset1:19
	s_wait_dscnt 0x0
	v_fmac_f64_e32 v[64:65], v[76:77], v[70:71]
	v_mul_f64_e32 v[70:71], v[56:57], v[74:75]
	v_mul_f64_e32 v[70:71], v[48:49], v[70:71]
	s_delay_alu instid0(VALU_DEP_1) | instskip(SKIP_1) | instid1(VALU_DEP_1)
	v_fmac_f64_e32 v[64:65], v[70:71], v[72:73]
	v_mul_f64_e32 v[70:71], v[0:1], v[66:67]
	v_mul_f64_e32 v[74:75], v[8:9], v[70:71]
	ds_load_2addr_b64 v[70:73], v69 offset0:20 offset1:21
	s_wait_dscnt 0x0
	v_fmac_f64_e32 v[64:65], v[74:75], v[70:71]
	v_mul_f64_e32 v[70:71], v[2:3], v[66:67]
	s_delay_alu instid0(VALU_DEP_1) | instskip(NEXT) | instid1(VALU_DEP_1)
	v_mul_f64_e32 v[70:71], v[16:17], v[70:71]
	v_fmac_f64_e32 v[64:65], v[70:71], v[72:73]
	v_mul_f64_e32 v[70:71], v[20:21], v[66:67]
	s_delay_alu instid0(VALU_DEP_1)
	v_mul_f64_e32 v[74:75], v[32:33], v[70:71]
	ds_load_2addr_b64 v[70:73], v69 offset0:22 offset1:23
	s_wait_dscnt 0x0
	v_fmac_f64_e32 v[64:65], v[74:75], v[70:71]
	v_mul_f64_e32 v[70:71], v[22:23], v[66:67]
	v_mul_f64_e32 v[66:67], v[56:57], v[66:67]
	s_delay_alu instid0(VALU_DEP_2) | instskip(NEXT) | instid1(VALU_DEP_2)
	v_mul_f64_e32 v[70:71], v[40:41], v[70:71]
	v_mul_f64_e32 v[66:67], v[48:49], v[66:67]
	s_delay_alu instid0(VALU_DEP_2)
	v_fmac_f64_e32 v[64:65], v[70:71], v[72:73]
	ds_load_b64 v[70:71], v69 offset:192
	s_wait_dscnt 0x0
	v_fmac_f64_e32 v[64:65], v[66:67], v[70:71]
	s_cbranch_scc1 .LBB1_29
; %bb.30:                               ;   in Loop: Header=BB1_24 Depth=1
	v_mov_b64_e32 v[66:67], 0
	s_mov_b64 s[2:3], 5
	s_mov_b32 s5, 0
	s_mov_b32 s6, 0
	global_store_b64 v[62:63], v[64:65], off offset:16384
.LBB1_31:                               ;   Parent Loop BB1_24 Depth=1
                                        ; =>  This Inner Loop Header: Depth=2
	s_add_co_i32 s7, s4, s5
	s_wait_xcnt 0x0
	v_dual_mov_b32 v69, s7 :: v_dual_add_nc_u32 v64, s5, v68
	s_add_nc_u64 s[2:3], s[2:3], -1
	s_add_co_i32 s5, s5, 32
	ds_load_b64 v[64:65], v64
	ds_load_b64 v[70:71], v69
	v_mov_b32_e32 v69, s6
	s_addk_co_i32 s6, 0xc8
	s_cmp_lg_u64 s[2:3], 0
	s_wait_dscnt 0x0
	v_mul_f64_e32 v[64:65], v[64:65], v[70:71]
	s_delay_alu instid0(VALU_DEP_1) | instskip(NEXT) | instid1(VALU_DEP_1)
	v_mul_f64_e32 v[70:71], v[24:25], v[64:65]
	v_mul_f64_e32 v[74:75], v[4:5], v[70:71]
	s_delay_alu instid0(VALU_DEP_1) | instskip(NEXT) | instid1(VALU_DEP_1)
	v_mul_f64_e32 v[70:71], v[0:1], v[74:75]
	v_mul_f64_e32 v[76:77], v[10:11], v[70:71]
	ds_load_2addr_b64 v[70:73], v69 offset1:1
	s_wait_dscnt 0x0
	v_fmac_f64_e32 v[66:67], v[70:71], v[76:77]
	v_mul_f64_e32 v[70:71], v[2:3], v[74:75]
	s_delay_alu instid0(VALU_DEP_1) | instskip(NEXT) | instid1(VALU_DEP_1)
	v_mul_f64_e32 v[70:71], v[18:19], v[70:71]
	v_fmac_f64_e32 v[66:67], v[72:73], v[70:71]
	v_mul_f64_e32 v[70:71], v[20:21], v[74:75]
	s_delay_alu instid0(VALU_DEP_1) | instskip(SKIP_4) | instid1(VALU_DEP_1)
	v_mul_f64_e32 v[76:77], v[34:35], v[70:71]
	ds_load_2addr_b64 v[70:73], v69 offset0:2 offset1:3
	s_wait_dscnt 0x0
	v_fmac_f64_e32 v[66:67], v[70:71], v[76:77]
	v_mul_f64_e32 v[70:71], v[22:23], v[74:75]
	v_mul_f64_e32 v[70:71], v[42:43], v[70:71]
	s_delay_alu instid0(VALU_DEP_1) | instskip(SKIP_1) | instid1(VALU_DEP_1)
	v_fmac_f64_e32 v[66:67], v[72:73], v[70:71]
	v_mul_f64_e32 v[70:71], v[56:57], v[74:75]
	v_mul_f64_e32 v[74:75], v[50:51], v[70:71]
	ds_load_2addr_b64 v[70:73], v69 offset0:4 offset1:5
	s_wait_dscnt 0x0
	v_fmac_f64_e32 v[66:67], v[74:75], v[70:71]
	v_mul_f64_e32 v[70:71], v[26:27], v[64:65]
	s_delay_alu instid0(VALU_DEP_1) | instskip(NEXT) | instid1(VALU_DEP_1)
	v_mul_f64_e32 v[74:75], v[12:13], v[70:71]
	v_mul_f64_e32 v[70:71], v[0:1], v[74:75]
	s_delay_alu instid0(VALU_DEP_1) | instskip(NEXT) | instid1(VALU_DEP_1)
	v_mul_f64_e32 v[70:71], v[10:11], v[70:71]
	v_fmac_f64_e32 v[66:67], v[70:71], v[72:73]
	v_mul_f64_e32 v[70:71], v[2:3], v[74:75]
	s_delay_alu instid0(VALU_DEP_1) | instskip(SKIP_4) | instid1(VALU_DEP_1)
	v_mul_f64_e32 v[76:77], v[18:19], v[70:71]
	ds_load_2addr_b64 v[70:73], v69 offset0:6 offset1:7
	s_wait_dscnt 0x0
	v_fmac_f64_e32 v[66:67], v[76:77], v[70:71]
	v_mul_f64_e32 v[70:71], v[20:21], v[74:75]
	v_mul_f64_e32 v[70:71], v[34:35], v[70:71]
	s_delay_alu instid0(VALU_DEP_1) | instskip(SKIP_1) | instid1(VALU_DEP_1)
	v_fmac_f64_e32 v[66:67], v[70:71], v[72:73]
	v_mul_f64_e32 v[70:71], v[22:23], v[74:75]
	v_mul_f64_e32 v[76:77], v[42:43], v[70:71]
	ds_load_2addr_b64 v[70:73], v69 offset0:8 offset1:9
	s_wait_dscnt 0x0
	v_fmac_f64_e32 v[66:67], v[76:77], v[70:71]
	v_mul_f64_e32 v[70:71], v[56:57], v[74:75]
	s_delay_alu instid0(VALU_DEP_1) | instskip(NEXT) | instid1(VALU_DEP_1)
	v_mul_f64_e32 v[70:71], v[50:51], v[70:71]
	v_fmac_f64_e32 v[66:67], v[70:71], v[72:73]
	v_mul_f64_e32 v[70:71], v[52:53], v[64:65]
	s_delay_alu instid0(VALU_DEP_1) | instskip(NEXT) | instid1(VALU_DEP_1)
	v_mul_f64_e32 v[74:75], v[28:29], v[70:71]
	v_mul_f64_e32 v[70:71], v[0:1], v[74:75]
	s_delay_alu instid0(VALU_DEP_1) | instskip(SKIP_4) | instid1(VALU_DEP_1)
	v_mul_f64_e32 v[76:77], v[10:11], v[70:71]
	ds_load_2addr_b64 v[70:73], v69 offset0:10 offset1:11
	s_wait_dscnt 0x0
	v_fmac_f64_e32 v[66:67], v[76:77], v[70:71]
	v_mul_f64_e32 v[70:71], v[2:3], v[74:75]
	v_mul_f64_e32 v[70:71], v[18:19], v[70:71]
	s_delay_alu instid0(VALU_DEP_1) | instskip(SKIP_1) | instid1(VALU_DEP_1)
	v_fmac_f64_e32 v[66:67], v[70:71], v[72:73]
	v_mul_f64_e32 v[70:71], v[20:21], v[74:75]
	v_mul_f64_e32 v[76:77], v[34:35], v[70:71]
	ds_load_2addr_b64 v[70:73], v69 offset0:12 offset1:13
	s_wait_dscnt 0x0
	v_fmac_f64_e32 v[66:67], v[76:77], v[70:71]
	v_mul_f64_e32 v[70:71], v[22:23], v[74:75]
	s_delay_alu instid0(VALU_DEP_1) | instskip(NEXT) | instid1(VALU_DEP_1)
	v_mul_f64_e32 v[70:71], v[42:43], v[70:71]
	v_fmac_f64_e32 v[66:67], v[70:71], v[72:73]
	v_mul_f64_e32 v[70:71], v[56:57], v[74:75]
	s_delay_alu instid0(VALU_DEP_1)
	v_mul_f64_e32 v[74:75], v[50:51], v[70:71]
	ds_load_2addr_b64 v[70:73], v69 offset0:14 offset1:15
	s_wait_dscnt 0x0
	v_fmac_f64_e32 v[66:67], v[74:75], v[70:71]
	v_mul_f64_e32 v[70:71], v[54:55], v[64:65]
	v_mul_f64_e32 v[64:65], v[58:59], v[64:65]
	s_delay_alu instid0(VALU_DEP_2) | instskip(NEXT) | instid1(VALU_DEP_2)
	v_mul_f64_e32 v[74:75], v[36:37], v[70:71]
	v_mul_f64_e32 v[64:65], v[44:45], v[64:65]
	s_delay_alu instid0(VALU_DEP_2) | instskip(NEXT) | instid1(VALU_DEP_1)
	v_mul_f64_e32 v[70:71], v[0:1], v[74:75]
	v_mul_f64_e32 v[70:71], v[10:11], v[70:71]
	s_delay_alu instid0(VALU_DEP_1) | instskip(SKIP_1) | instid1(VALU_DEP_1)
	v_fmac_f64_e32 v[66:67], v[70:71], v[72:73]
	v_mul_f64_e32 v[70:71], v[2:3], v[74:75]
	v_mul_f64_e32 v[76:77], v[18:19], v[70:71]
	ds_load_2addr_b64 v[70:73], v69 offset0:16 offset1:17
	s_wait_dscnt 0x0
	v_fmac_f64_e32 v[66:67], v[76:77], v[70:71]
	v_mul_f64_e32 v[70:71], v[20:21], v[74:75]
	s_delay_alu instid0(VALU_DEP_1) | instskip(NEXT) | instid1(VALU_DEP_1)
	v_mul_f64_e32 v[70:71], v[34:35], v[70:71]
	v_fmac_f64_e32 v[66:67], v[70:71], v[72:73]
	v_mul_f64_e32 v[70:71], v[22:23], v[74:75]
	s_delay_alu instid0(VALU_DEP_1) | instskip(SKIP_4) | instid1(VALU_DEP_1)
	v_mul_f64_e32 v[76:77], v[42:43], v[70:71]
	ds_load_2addr_b64 v[70:73], v69 offset0:18 offset1:19
	s_wait_dscnt 0x0
	v_fmac_f64_e32 v[66:67], v[76:77], v[70:71]
	v_mul_f64_e32 v[70:71], v[56:57], v[74:75]
	v_mul_f64_e32 v[70:71], v[50:51], v[70:71]
	s_delay_alu instid0(VALU_DEP_1) | instskip(SKIP_1) | instid1(VALU_DEP_1)
	v_fmac_f64_e32 v[66:67], v[70:71], v[72:73]
	v_mul_f64_e32 v[70:71], v[0:1], v[64:65]
	v_mul_f64_e32 v[74:75], v[10:11], v[70:71]
	ds_load_2addr_b64 v[70:73], v69 offset0:20 offset1:21
	s_wait_dscnt 0x0
	v_fmac_f64_e32 v[66:67], v[74:75], v[70:71]
	v_mul_f64_e32 v[70:71], v[2:3], v[64:65]
	s_delay_alu instid0(VALU_DEP_1) | instskip(NEXT) | instid1(VALU_DEP_1)
	v_mul_f64_e32 v[70:71], v[18:19], v[70:71]
	v_fmac_f64_e32 v[66:67], v[70:71], v[72:73]
	v_mul_f64_e32 v[70:71], v[20:21], v[64:65]
	s_delay_alu instid0(VALU_DEP_1)
	v_mul_f64_e32 v[74:75], v[34:35], v[70:71]
	ds_load_2addr_b64 v[70:73], v69 offset0:22 offset1:23
	s_wait_dscnt 0x0
	v_fmac_f64_e32 v[66:67], v[74:75], v[70:71]
	v_mul_f64_e32 v[70:71], v[22:23], v[64:65]
	v_mul_f64_e32 v[64:65], v[56:57], v[64:65]
	s_delay_alu instid0(VALU_DEP_2) | instskip(NEXT) | instid1(VALU_DEP_2)
	v_mul_f64_e32 v[70:71], v[42:43], v[70:71]
	v_mul_f64_e32 v[64:65], v[50:51], v[64:65]
	s_delay_alu instid0(VALU_DEP_2)
	v_fmac_f64_e32 v[66:67], v[70:71], v[72:73]
	ds_load_b64 v[70:71], v69 offset:192
	s_wait_dscnt 0x0
	v_fmac_f64_e32 v[66:67], v[64:65], v[70:71]
	s_cbranch_scc1 .LBB1_31
; %bb.32:                               ;   in Loop: Header=BB1_24 Depth=1
	v_mov_b64_e32 v[64:65], 0
	s_mov_b64 s[2:3], 5
	s_mov_b32 s5, 0
	s_mov_b32 s6, 0
	global_store_b64 v[62:63], v[66:67], off offset:24576
.LBB1_33:                               ;   Parent Loop BB1_24 Depth=1
                                        ; =>  This Inner Loop Header: Depth=2
	s_add_co_i32 s7, s4, s5
	s_wait_xcnt 0x0
	v_dual_mov_b32 v69, s7 :: v_dual_add_nc_u32 v66, s5, v68
	s_add_nc_u64 s[2:3], s[2:3], -1
	s_add_co_i32 s5, s5, 32
	ds_load_b64 v[66:67], v66
	ds_load_b64 v[70:71], v69
	v_mov_b32_e32 v69, s6
	s_addk_co_i32 s6, 0xc8
	s_cmp_lg_u64 s[2:3], 0
	s_wait_dscnt 0x0
	v_mul_f64_e32 v[66:67], v[66:67], v[70:71]
	s_delay_alu instid0(VALU_DEP_1) | instskip(NEXT) | instid1(VALU_DEP_1)
	v_mul_f64_e32 v[70:71], v[24:25], v[66:67]
	v_mul_f64_e32 v[74:75], v[6:7], v[70:71]
	s_delay_alu instid0(VALU_DEP_1) | instskip(NEXT) | instid1(VALU_DEP_1)
	v_mul_f64_e32 v[70:71], v[0:1], v[74:75]
	v_mul_f64_e32 v[76:77], v[4:5], v[70:71]
	ds_load_2addr_b64 v[70:73], v69 offset1:1
	s_wait_dscnt 0x0
	v_fmac_f64_e32 v[64:65], v[70:71], v[76:77]
	v_mul_f64_e32 v[70:71], v[2:3], v[74:75]
	s_delay_alu instid0(VALU_DEP_1) | instskip(NEXT) | instid1(VALU_DEP_1)
	v_mul_f64_e32 v[70:71], v[12:13], v[70:71]
	v_fmac_f64_e32 v[64:65], v[72:73], v[70:71]
	v_mul_f64_e32 v[70:71], v[20:21], v[74:75]
	s_delay_alu instid0(VALU_DEP_1) | instskip(SKIP_4) | instid1(VALU_DEP_1)
	v_mul_f64_e32 v[76:77], v[28:29], v[70:71]
	ds_load_2addr_b64 v[70:73], v69 offset0:2 offset1:3
	s_wait_dscnt 0x0
	v_fmac_f64_e32 v[64:65], v[70:71], v[76:77]
	v_mul_f64_e32 v[70:71], v[22:23], v[74:75]
	v_mul_f64_e32 v[70:71], v[36:37], v[70:71]
	s_delay_alu instid0(VALU_DEP_1) | instskip(SKIP_1) | instid1(VALU_DEP_1)
	v_fmac_f64_e32 v[64:65], v[72:73], v[70:71]
	v_mul_f64_e32 v[70:71], v[56:57], v[74:75]
	v_mul_f64_e32 v[74:75], v[44:45], v[70:71]
	ds_load_2addr_b64 v[70:73], v69 offset0:4 offset1:5
	s_wait_dscnt 0x0
	v_fmac_f64_e32 v[64:65], v[74:75], v[70:71]
	v_mul_f64_e32 v[70:71], v[26:27], v[66:67]
	s_delay_alu instid0(VALU_DEP_1) | instskip(NEXT) | instid1(VALU_DEP_1)
	v_mul_f64_e32 v[74:75], v[14:15], v[70:71]
	v_mul_f64_e32 v[70:71], v[0:1], v[74:75]
	s_delay_alu instid0(VALU_DEP_1) | instskip(NEXT) | instid1(VALU_DEP_1)
	v_mul_f64_e32 v[70:71], v[4:5], v[70:71]
	v_fmac_f64_e32 v[64:65], v[70:71], v[72:73]
	v_mul_f64_e32 v[70:71], v[2:3], v[74:75]
	s_delay_alu instid0(VALU_DEP_1) | instskip(SKIP_4) | instid1(VALU_DEP_1)
	v_mul_f64_e32 v[76:77], v[12:13], v[70:71]
	ds_load_2addr_b64 v[70:73], v69 offset0:6 offset1:7
	s_wait_dscnt 0x0
	v_fmac_f64_e32 v[64:65], v[76:77], v[70:71]
	v_mul_f64_e32 v[70:71], v[20:21], v[74:75]
	v_mul_f64_e32 v[70:71], v[28:29], v[70:71]
	s_delay_alu instid0(VALU_DEP_1) | instskip(SKIP_1) | instid1(VALU_DEP_1)
	v_fmac_f64_e32 v[64:65], v[70:71], v[72:73]
	v_mul_f64_e32 v[70:71], v[22:23], v[74:75]
	v_mul_f64_e32 v[76:77], v[36:37], v[70:71]
	ds_load_2addr_b64 v[70:73], v69 offset0:8 offset1:9
	s_wait_dscnt 0x0
	v_fmac_f64_e32 v[64:65], v[76:77], v[70:71]
	v_mul_f64_e32 v[70:71], v[56:57], v[74:75]
	s_delay_alu instid0(VALU_DEP_1) | instskip(NEXT) | instid1(VALU_DEP_1)
	v_mul_f64_e32 v[70:71], v[44:45], v[70:71]
	v_fmac_f64_e32 v[64:65], v[70:71], v[72:73]
	v_mul_f64_e32 v[70:71], v[52:53], v[66:67]
	s_delay_alu instid0(VALU_DEP_1) | instskip(NEXT) | instid1(VALU_DEP_1)
	v_mul_f64_e32 v[74:75], v[30:31], v[70:71]
	v_mul_f64_e32 v[70:71], v[0:1], v[74:75]
	s_delay_alu instid0(VALU_DEP_1) | instskip(SKIP_4) | instid1(VALU_DEP_1)
	v_mul_f64_e32 v[76:77], v[4:5], v[70:71]
	ds_load_2addr_b64 v[70:73], v69 offset0:10 offset1:11
	s_wait_dscnt 0x0
	v_fmac_f64_e32 v[64:65], v[76:77], v[70:71]
	v_mul_f64_e32 v[70:71], v[2:3], v[74:75]
	v_mul_f64_e32 v[70:71], v[12:13], v[70:71]
	s_delay_alu instid0(VALU_DEP_1) | instskip(SKIP_1) | instid1(VALU_DEP_1)
	v_fmac_f64_e32 v[64:65], v[70:71], v[72:73]
	v_mul_f64_e32 v[70:71], v[20:21], v[74:75]
	v_mul_f64_e32 v[76:77], v[28:29], v[70:71]
	ds_load_2addr_b64 v[70:73], v69 offset0:12 offset1:13
	s_wait_dscnt 0x0
	v_fmac_f64_e32 v[64:65], v[76:77], v[70:71]
	v_mul_f64_e32 v[70:71], v[22:23], v[74:75]
	s_delay_alu instid0(VALU_DEP_1) | instskip(NEXT) | instid1(VALU_DEP_1)
	v_mul_f64_e32 v[70:71], v[36:37], v[70:71]
	v_fmac_f64_e32 v[64:65], v[70:71], v[72:73]
	v_mul_f64_e32 v[70:71], v[56:57], v[74:75]
	s_delay_alu instid0(VALU_DEP_1)
	v_mul_f64_e32 v[74:75], v[44:45], v[70:71]
	ds_load_2addr_b64 v[70:73], v69 offset0:14 offset1:15
	s_wait_dscnt 0x0
	v_fmac_f64_e32 v[64:65], v[74:75], v[70:71]
	v_mul_f64_e32 v[70:71], v[54:55], v[66:67]
	v_mul_f64_e32 v[66:67], v[58:59], v[66:67]
	s_delay_alu instid0(VALU_DEP_2) | instskip(NEXT) | instid1(VALU_DEP_2)
	v_mul_f64_e32 v[74:75], v[38:39], v[70:71]
	v_mul_f64_e32 v[66:67], v[46:47], v[66:67]
	s_delay_alu instid0(VALU_DEP_2) | instskip(NEXT) | instid1(VALU_DEP_1)
	v_mul_f64_e32 v[70:71], v[0:1], v[74:75]
	v_mul_f64_e32 v[70:71], v[4:5], v[70:71]
	s_delay_alu instid0(VALU_DEP_1) | instskip(SKIP_1) | instid1(VALU_DEP_1)
	v_fmac_f64_e32 v[64:65], v[70:71], v[72:73]
	v_mul_f64_e32 v[70:71], v[2:3], v[74:75]
	v_mul_f64_e32 v[76:77], v[12:13], v[70:71]
	ds_load_2addr_b64 v[70:73], v69 offset0:16 offset1:17
	s_wait_dscnt 0x0
	v_fmac_f64_e32 v[64:65], v[76:77], v[70:71]
	v_mul_f64_e32 v[70:71], v[20:21], v[74:75]
	s_delay_alu instid0(VALU_DEP_1) | instskip(NEXT) | instid1(VALU_DEP_1)
	v_mul_f64_e32 v[70:71], v[28:29], v[70:71]
	v_fmac_f64_e32 v[64:65], v[70:71], v[72:73]
	v_mul_f64_e32 v[70:71], v[22:23], v[74:75]
	s_delay_alu instid0(VALU_DEP_1) | instskip(SKIP_4) | instid1(VALU_DEP_1)
	v_mul_f64_e32 v[76:77], v[36:37], v[70:71]
	ds_load_2addr_b64 v[70:73], v69 offset0:18 offset1:19
	s_wait_dscnt 0x0
	v_fmac_f64_e32 v[64:65], v[76:77], v[70:71]
	v_mul_f64_e32 v[70:71], v[56:57], v[74:75]
	v_mul_f64_e32 v[70:71], v[44:45], v[70:71]
	s_delay_alu instid0(VALU_DEP_1) | instskip(SKIP_1) | instid1(VALU_DEP_1)
	v_fmac_f64_e32 v[64:65], v[70:71], v[72:73]
	v_mul_f64_e32 v[70:71], v[0:1], v[66:67]
	v_mul_f64_e32 v[74:75], v[4:5], v[70:71]
	ds_load_2addr_b64 v[70:73], v69 offset0:20 offset1:21
	s_wait_dscnt 0x0
	v_fmac_f64_e32 v[64:65], v[74:75], v[70:71]
	v_mul_f64_e32 v[70:71], v[2:3], v[66:67]
	s_delay_alu instid0(VALU_DEP_1) | instskip(NEXT) | instid1(VALU_DEP_1)
	v_mul_f64_e32 v[70:71], v[12:13], v[70:71]
	v_fmac_f64_e32 v[64:65], v[70:71], v[72:73]
	v_mul_f64_e32 v[70:71], v[20:21], v[66:67]
	s_delay_alu instid0(VALU_DEP_1)
	v_mul_f64_e32 v[74:75], v[28:29], v[70:71]
	ds_load_2addr_b64 v[70:73], v69 offset0:22 offset1:23
	s_wait_dscnt 0x0
	v_fmac_f64_e32 v[64:65], v[74:75], v[70:71]
	v_mul_f64_e32 v[70:71], v[22:23], v[66:67]
	v_mul_f64_e32 v[66:67], v[56:57], v[66:67]
	s_delay_alu instid0(VALU_DEP_2) | instskip(NEXT) | instid1(VALU_DEP_2)
	v_mul_f64_e32 v[70:71], v[36:37], v[70:71]
	v_mul_f64_e32 v[66:67], v[44:45], v[66:67]
	s_delay_alu instid0(VALU_DEP_2)
	v_fmac_f64_e32 v[64:65], v[70:71], v[72:73]
	ds_load_b64 v[70:71], v69 offset:192
	s_wait_dscnt 0x0
	v_fmac_f64_e32 v[64:65], v[66:67], v[70:71]
	s_cbranch_scc1 .LBB1_33
; %bb.34:                               ;   in Loop: Header=BB1_24 Depth=1
	v_mov_b64_e32 v[66:67], 0
	s_mov_b64 s[2:3], 5
	s_mov_b32 s5, 0
	s_mov_b32 s6, 0
	global_store_b64 v[62:63], v[64:65], off offset:2048
.LBB1_35:                               ;   Parent Loop BB1_24 Depth=1
                                        ; =>  This Inner Loop Header: Depth=2
	s_add_co_i32 s7, s4, s5
	s_wait_xcnt 0x0
	v_dual_mov_b32 v69, s7 :: v_dual_add_nc_u32 v64, s5, v68
	s_add_nc_u64 s[2:3], s[2:3], -1
	s_add_co_i32 s5, s5, 32
	ds_load_b64 v[64:65], v64
	ds_load_b64 v[70:71], v69
	v_mov_b32_e32 v69, s6
	s_addk_co_i32 s6, 0xc8
	s_cmp_lg_u64 s[2:3], 0
	s_wait_dscnt 0x0
	v_mul_f64_e32 v[64:65], v[64:65], v[70:71]
	s_delay_alu instid0(VALU_DEP_1) | instskip(NEXT) | instid1(VALU_DEP_1)
	v_mul_f64_e32 v[70:71], v[24:25], v[64:65]
	v_mul_f64_e32 v[74:75], v[6:7], v[70:71]
	s_delay_alu instid0(VALU_DEP_1) | instskip(NEXT) | instid1(VALU_DEP_1)
	v_mul_f64_e32 v[70:71], v[0:1], v[74:75]
	v_mul_f64_e32 v[76:77], v[6:7], v[70:71]
	ds_load_2addr_b64 v[70:73], v69 offset1:1
	s_wait_dscnt 0x0
	v_fmac_f64_e32 v[66:67], v[70:71], v[76:77]
	v_mul_f64_e32 v[70:71], v[2:3], v[74:75]
	s_delay_alu instid0(VALU_DEP_1) | instskip(NEXT) | instid1(VALU_DEP_1)
	v_mul_f64_e32 v[70:71], v[14:15], v[70:71]
	v_fmac_f64_e32 v[66:67], v[72:73], v[70:71]
	v_mul_f64_e32 v[70:71], v[20:21], v[74:75]
	s_delay_alu instid0(VALU_DEP_1) | instskip(SKIP_4) | instid1(VALU_DEP_1)
	v_mul_f64_e32 v[76:77], v[30:31], v[70:71]
	ds_load_2addr_b64 v[70:73], v69 offset0:2 offset1:3
	s_wait_dscnt 0x0
	v_fmac_f64_e32 v[66:67], v[70:71], v[76:77]
	v_mul_f64_e32 v[70:71], v[22:23], v[74:75]
	v_mul_f64_e32 v[70:71], v[38:39], v[70:71]
	s_delay_alu instid0(VALU_DEP_1) | instskip(SKIP_1) | instid1(VALU_DEP_1)
	v_fmac_f64_e32 v[66:67], v[72:73], v[70:71]
	v_mul_f64_e32 v[70:71], v[56:57], v[74:75]
	v_mul_f64_e32 v[74:75], v[46:47], v[70:71]
	ds_load_2addr_b64 v[70:73], v69 offset0:4 offset1:5
	s_wait_dscnt 0x0
	v_fmac_f64_e32 v[66:67], v[74:75], v[70:71]
	v_mul_f64_e32 v[70:71], v[26:27], v[64:65]
	s_delay_alu instid0(VALU_DEP_1) | instskip(NEXT) | instid1(VALU_DEP_1)
	v_mul_f64_e32 v[74:75], v[14:15], v[70:71]
	v_mul_f64_e32 v[70:71], v[0:1], v[74:75]
	s_delay_alu instid0(VALU_DEP_1) | instskip(NEXT) | instid1(VALU_DEP_1)
	v_mul_f64_e32 v[70:71], v[6:7], v[70:71]
	v_fmac_f64_e32 v[66:67], v[70:71], v[72:73]
	v_mul_f64_e32 v[70:71], v[2:3], v[74:75]
	s_delay_alu instid0(VALU_DEP_1) | instskip(SKIP_4) | instid1(VALU_DEP_1)
	v_mul_f64_e32 v[76:77], v[14:15], v[70:71]
	ds_load_2addr_b64 v[70:73], v69 offset0:6 offset1:7
	s_wait_dscnt 0x0
	v_fmac_f64_e32 v[66:67], v[76:77], v[70:71]
	v_mul_f64_e32 v[70:71], v[20:21], v[74:75]
	v_mul_f64_e32 v[70:71], v[30:31], v[70:71]
	s_delay_alu instid0(VALU_DEP_1) | instskip(SKIP_1) | instid1(VALU_DEP_1)
	v_fmac_f64_e32 v[66:67], v[70:71], v[72:73]
	v_mul_f64_e32 v[70:71], v[22:23], v[74:75]
	v_mul_f64_e32 v[76:77], v[38:39], v[70:71]
	ds_load_2addr_b64 v[70:73], v69 offset0:8 offset1:9
	s_wait_dscnt 0x0
	v_fmac_f64_e32 v[66:67], v[76:77], v[70:71]
	v_mul_f64_e32 v[70:71], v[56:57], v[74:75]
	s_delay_alu instid0(VALU_DEP_1) | instskip(NEXT) | instid1(VALU_DEP_1)
	v_mul_f64_e32 v[70:71], v[46:47], v[70:71]
	v_fmac_f64_e32 v[66:67], v[70:71], v[72:73]
	v_mul_f64_e32 v[70:71], v[52:53], v[64:65]
	s_delay_alu instid0(VALU_DEP_1) | instskip(NEXT) | instid1(VALU_DEP_1)
	v_mul_f64_e32 v[74:75], v[30:31], v[70:71]
	v_mul_f64_e32 v[70:71], v[0:1], v[74:75]
	s_delay_alu instid0(VALU_DEP_1) | instskip(SKIP_4) | instid1(VALU_DEP_1)
	v_mul_f64_e32 v[76:77], v[6:7], v[70:71]
	ds_load_2addr_b64 v[70:73], v69 offset0:10 offset1:11
	s_wait_dscnt 0x0
	v_fmac_f64_e32 v[66:67], v[76:77], v[70:71]
	v_mul_f64_e32 v[70:71], v[2:3], v[74:75]
	v_mul_f64_e32 v[70:71], v[14:15], v[70:71]
	s_delay_alu instid0(VALU_DEP_1) | instskip(SKIP_1) | instid1(VALU_DEP_1)
	v_fmac_f64_e32 v[66:67], v[70:71], v[72:73]
	v_mul_f64_e32 v[70:71], v[20:21], v[74:75]
	v_mul_f64_e32 v[76:77], v[30:31], v[70:71]
	ds_load_2addr_b64 v[70:73], v69 offset0:12 offset1:13
	s_wait_dscnt 0x0
	v_fmac_f64_e32 v[66:67], v[76:77], v[70:71]
	v_mul_f64_e32 v[70:71], v[22:23], v[74:75]
	s_delay_alu instid0(VALU_DEP_1) | instskip(NEXT) | instid1(VALU_DEP_1)
	v_mul_f64_e32 v[70:71], v[38:39], v[70:71]
	v_fmac_f64_e32 v[66:67], v[70:71], v[72:73]
	v_mul_f64_e32 v[70:71], v[56:57], v[74:75]
	s_delay_alu instid0(VALU_DEP_1)
	v_mul_f64_e32 v[74:75], v[46:47], v[70:71]
	ds_load_2addr_b64 v[70:73], v69 offset0:14 offset1:15
	s_wait_dscnt 0x0
	v_fmac_f64_e32 v[66:67], v[74:75], v[70:71]
	v_mul_f64_e32 v[70:71], v[54:55], v[64:65]
	v_mul_f64_e32 v[64:65], v[58:59], v[64:65]
	s_delay_alu instid0(VALU_DEP_2) | instskip(NEXT) | instid1(VALU_DEP_2)
	v_mul_f64_e32 v[74:75], v[38:39], v[70:71]
	v_mul_f64_e32 v[64:65], v[46:47], v[64:65]
	s_delay_alu instid0(VALU_DEP_2) | instskip(NEXT) | instid1(VALU_DEP_1)
	v_mul_f64_e32 v[70:71], v[0:1], v[74:75]
	v_mul_f64_e32 v[70:71], v[6:7], v[70:71]
	s_delay_alu instid0(VALU_DEP_1) | instskip(SKIP_1) | instid1(VALU_DEP_1)
	v_fmac_f64_e32 v[66:67], v[70:71], v[72:73]
	v_mul_f64_e32 v[70:71], v[2:3], v[74:75]
	v_mul_f64_e32 v[76:77], v[14:15], v[70:71]
	ds_load_2addr_b64 v[70:73], v69 offset0:16 offset1:17
	s_wait_dscnt 0x0
	v_fmac_f64_e32 v[66:67], v[76:77], v[70:71]
	v_mul_f64_e32 v[70:71], v[20:21], v[74:75]
	s_delay_alu instid0(VALU_DEP_1) | instskip(NEXT) | instid1(VALU_DEP_1)
	v_mul_f64_e32 v[70:71], v[30:31], v[70:71]
	v_fmac_f64_e32 v[66:67], v[70:71], v[72:73]
	v_mul_f64_e32 v[70:71], v[22:23], v[74:75]
	s_delay_alu instid0(VALU_DEP_1) | instskip(SKIP_4) | instid1(VALU_DEP_1)
	v_mul_f64_e32 v[76:77], v[38:39], v[70:71]
	ds_load_2addr_b64 v[70:73], v69 offset0:18 offset1:19
	s_wait_dscnt 0x0
	v_fmac_f64_e32 v[66:67], v[76:77], v[70:71]
	v_mul_f64_e32 v[70:71], v[56:57], v[74:75]
	v_mul_f64_e32 v[70:71], v[46:47], v[70:71]
	s_delay_alu instid0(VALU_DEP_1) | instskip(SKIP_1) | instid1(VALU_DEP_1)
	v_fmac_f64_e32 v[66:67], v[70:71], v[72:73]
	v_mul_f64_e32 v[70:71], v[0:1], v[64:65]
	v_mul_f64_e32 v[74:75], v[6:7], v[70:71]
	ds_load_2addr_b64 v[70:73], v69 offset0:20 offset1:21
	s_wait_dscnt 0x0
	v_fmac_f64_e32 v[66:67], v[74:75], v[70:71]
	v_mul_f64_e32 v[70:71], v[2:3], v[64:65]
	s_delay_alu instid0(VALU_DEP_1) | instskip(NEXT) | instid1(VALU_DEP_1)
	v_mul_f64_e32 v[70:71], v[14:15], v[70:71]
	v_fmac_f64_e32 v[66:67], v[70:71], v[72:73]
	v_mul_f64_e32 v[70:71], v[20:21], v[64:65]
	s_delay_alu instid0(VALU_DEP_1)
	v_mul_f64_e32 v[74:75], v[30:31], v[70:71]
	ds_load_2addr_b64 v[70:73], v69 offset0:22 offset1:23
	s_wait_dscnt 0x0
	v_fmac_f64_e32 v[66:67], v[74:75], v[70:71]
	v_mul_f64_e32 v[70:71], v[22:23], v[64:65]
	v_mul_f64_e32 v[64:65], v[56:57], v[64:65]
	s_delay_alu instid0(VALU_DEP_2) | instskip(NEXT) | instid1(VALU_DEP_2)
	v_mul_f64_e32 v[70:71], v[38:39], v[70:71]
	v_mul_f64_e32 v[64:65], v[46:47], v[64:65]
	s_delay_alu instid0(VALU_DEP_2)
	v_fmac_f64_e32 v[66:67], v[70:71], v[72:73]
	ds_load_b64 v[70:71], v69 offset:192
	s_wait_dscnt 0x0
	v_fmac_f64_e32 v[66:67], v[64:65], v[70:71]
	s_cbranch_scc1 .LBB1_35
; %bb.36:                               ;   in Loop: Header=BB1_24 Depth=1
	v_mov_b64_e32 v[64:65], 0
	s_mov_b64 s[2:3], 5
	s_mov_b32 s5, 0
	s_mov_b32 s6, 0
	global_store_b64 v[62:63], v[66:67], off offset:10240
.LBB1_37:                               ;   Parent Loop BB1_24 Depth=1
                                        ; =>  This Inner Loop Header: Depth=2
	s_add_co_i32 s7, s4, s5
	s_wait_xcnt 0x0
	v_dual_mov_b32 v69, s7 :: v_dual_add_nc_u32 v66, s5, v68
	s_add_nc_u64 s[2:3], s[2:3], -1
	s_add_co_i32 s5, s5, 32
	ds_load_b64 v[66:67], v66
	ds_load_b64 v[70:71], v69
	v_mov_b32_e32 v69, s6
	s_addk_co_i32 s6, 0xc8
	s_cmp_lg_u64 s[2:3], 0
	s_wait_dscnt 0x0
	v_mul_f64_e32 v[66:67], v[66:67], v[70:71]
	s_delay_alu instid0(VALU_DEP_1) | instskip(NEXT) | instid1(VALU_DEP_1)
	v_mul_f64_e32 v[70:71], v[24:25], v[66:67]
	v_mul_f64_e32 v[74:75], v[6:7], v[70:71]
	s_delay_alu instid0(VALU_DEP_1) | instskip(NEXT) | instid1(VALU_DEP_1)
	v_mul_f64_e32 v[70:71], v[0:1], v[74:75]
	v_mul_f64_e32 v[76:77], v[8:9], v[70:71]
	ds_load_2addr_b64 v[70:73], v69 offset1:1
	s_wait_dscnt 0x0
	v_fmac_f64_e32 v[64:65], v[70:71], v[76:77]
	v_mul_f64_e32 v[70:71], v[2:3], v[74:75]
	s_delay_alu instid0(VALU_DEP_1) | instskip(NEXT) | instid1(VALU_DEP_1)
	v_mul_f64_e32 v[70:71], v[16:17], v[70:71]
	v_fmac_f64_e32 v[64:65], v[72:73], v[70:71]
	v_mul_f64_e32 v[70:71], v[20:21], v[74:75]
	s_delay_alu instid0(VALU_DEP_1) | instskip(SKIP_4) | instid1(VALU_DEP_1)
	v_mul_f64_e32 v[76:77], v[32:33], v[70:71]
	ds_load_2addr_b64 v[70:73], v69 offset0:2 offset1:3
	s_wait_dscnt 0x0
	v_fmac_f64_e32 v[64:65], v[70:71], v[76:77]
	v_mul_f64_e32 v[70:71], v[22:23], v[74:75]
	v_mul_f64_e32 v[70:71], v[40:41], v[70:71]
	s_delay_alu instid0(VALU_DEP_1) | instskip(SKIP_1) | instid1(VALU_DEP_1)
	v_fmac_f64_e32 v[64:65], v[72:73], v[70:71]
	v_mul_f64_e32 v[70:71], v[56:57], v[74:75]
	v_mul_f64_e32 v[74:75], v[48:49], v[70:71]
	ds_load_2addr_b64 v[70:73], v69 offset0:4 offset1:5
	s_wait_dscnt 0x0
	v_fmac_f64_e32 v[64:65], v[74:75], v[70:71]
	v_mul_f64_e32 v[70:71], v[26:27], v[66:67]
	s_delay_alu instid0(VALU_DEP_1) | instskip(NEXT) | instid1(VALU_DEP_1)
	v_mul_f64_e32 v[74:75], v[14:15], v[70:71]
	v_mul_f64_e32 v[70:71], v[0:1], v[74:75]
	s_delay_alu instid0(VALU_DEP_1) | instskip(NEXT) | instid1(VALU_DEP_1)
	v_mul_f64_e32 v[70:71], v[8:9], v[70:71]
	v_fmac_f64_e32 v[64:65], v[70:71], v[72:73]
	v_mul_f64_e32 v[70:71], v[2:3], v[74:75]
	s_delay_alu instid0(VALU_DEP_1) | instskip(SKIP_4) | instid1(VALU_DEP_1)
	v_mul_f64_e32 v[76:77], v[16:17], v[70:71]
	ds_load_2addr_b64 v[70:73], v69 offset0:6 offset1:7
	s_wait_dscnt 0x0
	v_fmac_f64_e32 v[64:65], v[76:77], v[70:71]
	v_mul_f64_e32 v[70:71], v[20:21], v[74:75]
	v_mul_f64_e32 v[70:71], v[32:33], v[70:71]
	s_delay_alu instid0(VALU_DEP_1) | instskip(SKIP_1) | instid1(VALU_DEP_1)
	v_fmac_f64_e32 v[64:65], v[70:71], v[72:73]
	v_mul_f64_e32 v[70:71], v[22:23], v[74:75]
	v_mul_f64_e32 v[76:77], v[40:41], v[70:71]
	ds_load_2addr_b64 v[70:73], v69 offset0:8 offset1:9
	s_wait_dscnt 0x0
	v_fmac_f64_e32 v[64:65], v[76:77], v[70:71]
	v_mul_f64_e32 v[70:71], v[56:57], v[74:75]
	s_delay_alu instid0(VALU_DEP_1) | instskip(NEXT) | instid1(VALU_DEP_1)
	v_mul_f64_e32 v[70:71], v[48:49], v[70:71]
	v_fmac_f64_e32 v[64:65], v[70:71], v[72:73]
	v_mul_f64_e32 v[70:71], v[52:53], v[66:67]
	s_delay_alu instid0(VALU_DEP_1) | instskip(NEXT) | instid1(VALU_DEP_1)
	v_mul_f64_e32 v[74:75], v[30:31], v[70:71]
	v_mul_f64_e32 v[70:71], v[0:1], v[74:75]
	s_delay_alu instid0(VALU_DEP_1) | instskip(SKIP_4) | instid1(VALU_DEP_1)
	v_mul_f64_e32 v[76:77], v[8:9], v[70:71]
	ds_load_2addr_b64 v[70:73], v69 offset0:10 offset1:11
	s_wait_dscnt 0x0
	v_fmac_f64_e32 v[64:65], v[76:77], v[70:71]
	v_mul_f64_e32 v[70:71], v[2:3], v[74:75]
	v_mul_f64_e32 v[70:71], v[16:17], v[70:71]
	s_delay_alu instid0(VALU_DEP_1) | instskip(SKIP_1) | instid1(VALU_DEP_1)
	v_fmac_f64_e32 v[64:65], v[70:71], v[72:73]
	v_mul_f64_e32 v[70:71], v[20:21], v[74:75]
	v_mul_f64_e32 v[76:77], v[32:33], v[70:71]
	ds_load_2addr_b64 v[70:73], v69 offset0:12 offset1:13
	s_wait_dscnt 0x0
	v_fmac_f64_e32 v[64:65], v[76:77], v[70:71]
	v_mul_f64_e32 v[70:71], v[22:23], v[74:75]
	s_delay_alu instid0(VALU_DEP_1) | instskip(NEXT) | instid1(VALU_DEP_1)
	v_mul_f64_e32 v[70:71], v[40:41], v[70:71]
	v_fmac_f64_e32 v[64:65], v[70:71], v[72:73]
	v_mul_f64_e32 v[70:71], v[56:57], v[74:75]
	s_delay_alu instid0(VALU_DEP_1)
	v_mul_f64_e32 v[74:75], v[48:49], v[70:71]
	ds_load_2addr_b64 v[70:73], v69 offset0:14 offset1:15
	s_wait_dscnt 0x0
	v_fmac_f64_e32 v[64:65], v[74:75], v[70:71]
	v_mul_f64_e32 v[70:71], v[54:55], v[66:67]
	v_mul_f64_e32 v[66:67], v[58:59], v[66:67]
	s_delay_alu instid0(VALU_DEP_2) | instskip(NEXT) | instid1(VALU_DEP_2)
	v_mul_f64_e32 v[74:75], v[38:39], v[70:71]
	v_mul_f64_e32 v[66:67], v[46:47], v[66:67]
	s_delay_alu instid0(VALU_DEP_2) | instskip(NEXT) | instid1(VALU_DEP_1)
	v_mul_f64_e32 v[70:71], v[0:1], v[74:75]
	v_mul_f64_e32 v[70:71], v[8:9], v[70:71]
	s_delay_alu instid0(VALU_DEP_1) | instskip(SKIP_1) | instid1(VALU_DEP_1)
	v_fmac_f64_e32 v[64:65], v[70:71], v[72:73]
	v_mul_f64_e32 v[70:71], v[2:3], v[74:75]
	v_mul_f64_e32 v[76:77], v[16:17], v[70:71]
	ds_load_2addr_b64 v[70:73], v69 offset0:16 offset1:17
	s_wait_dscnt 0x0
	v_fmac_f64_e32 v[64:65], v[76:77], v[70:71]
	v_mul_f64_e32 v[70:71], v[20:21], v[74:75]
	s_delay_alu instid0(VALU_DEP_1) | instskip(NEXT) | instid1(VALU_DEP_1)
	v_mul_f64_e32 v[70:71], v[32:33], v[70:71]
	v_fmac_f64_e32 v[64:65], v[70:71], v[72:73]
	v_mul_f64_e32 v[70:71], v[22:23], v[74:75]
	s_delay_alu instid0(VALU_DEP_1) | instskip(SKIP_4) | instid1(VALU_DEP_1)
	v_mul_f64_e32 v[76:77], v[40:41], v[70:71]
	ds_load_2addr_b64 v[70:73], v69 offset0:18 offset1:19
	s_wait_dscnt 0x0
	v_fmac_f64_e32 v[64:65], v[76:77], v[70:71]
	v_mul_f64_e32 v[70:71], v[56:57], v[74:75]
	v_mul_f64_e32 v[70:71], v[48:49], v[70:71]
	s_delay_alu instid0(VALU_DEP_1) | instskip(SKIP_1) | instid1(VALU_DEP_1)
	v_fmac_f64_e32 v[64:65], v[70:71], v[72:73]
	v_mul_f64_e32 v[70:71], v[0:1], v[66:67]
	v_mul_f64_e32 v[74:75], v[8:9], v[70:71]
	ds_load_2addr_b64 v[70:73], v69 offset0:20 offset1:21
	s_wait_dscnt 0x0
	v_fmac_f64_e32 v[64:65], v[74:75], v[70:71]
	v_mul_f64_e32 v[70:71], v[2:3], v[66:67]
	s_delay_alu instid0(VALU_DEP_1) | instskip(NEXT) | instid1(VALU_DEP_1)
	v_mul_f64_e32 v[70:71], v[16:17], v[70:71]
	v_fmac_f64_e32 v[64:65], v[70:71], v[72:73]
	v_mul_f64_e32 v[70:71], v[20:21], v[66:67]
	s_delay_alu instid0(VALU_DEP_1)
	v_mul_f64_e32 v[74:75], v[32:33], v[70:71]
	ds_load_2addr_b64 v[70:73], v69 offset0:22 offset1:23
	s_wait_dscnt 0x0
	v_fmac_f64_e32 v[64:65], v[74:75], v[70:71]
	v_mul_f64_e32 v[70:71], v[22:23], v[66:67]
	v_mul_f64_e32 v[66:67], v[56:57], v[66:67]
	s_delay_alu instid0(VALU_DEP_2) | instskip(NEXT) | instid1(VALU_DEP_2)
	v_mul_f64_e32 v[70:71], v[40:41], v[70:71]
	v_mul_f64_e32 v[66:67], v[48:49], v[66:67]
	s_delay_alu instid0(VALU_DEP_2)
	v_fmac_f64_e32 v[64:65], v[70:71], v[72:73]
	ds_load_b64 v[70:71], v69 offset:192
	s_wait_dscnt 0x0
	v_fmac_f64_e32 v[64:65], v[66:67], v[70:71]
	s_cbranch_scc1 .LBB1_37
; %bb.38:                               ;   in Loop: Header=BB1_24 Depth=1
	v_mov_b64_e32 v[66:67], 0
	s_mov_b64 s[2:3], 5
	s_mov_b32 s5, 0
	s_mov_b32 s6, 0
	global_store_b64 v[62:63], v[64:65], off offset:18432
.LBB1_39:                               ;   Parent Loop BB1_24 Depth=1
                                        ; =>  This Inner Loop Header: Depth=2
	s_add_co_i32 s7, s4, s5
	s_wait_xcnt 0x0
	v_dual_mov_b32 v69, s7 :: v_dual_add_nc_u32 v64, s5, v68
	s_add_nc_u64 s[2:3], s[2:3], -1
	s_add_co_i32 s5, s5, 32
	ds_load_b64 v[64:65], v64
	ds_load_b64 v[70:71], v69
	v_mov_b32_e32 v69, s6
	s_addk_co_i32 s6, 0xc8
	s_cmp_lg_u64 s[2:3], 0
	s_wait_dscnt 0x0
	v_mul_f64_e32 v[64:65], v[64:65], v[70:71]
	s_delay_alu instid0(VALU_DEP_1) | instskip(NEXT) | instid1(VALU_DEP_1)
	v_mul_f64_e32 v[70:71], v[24:25], v[64:65]
	v_mul_f64_e32 v[74:75], v[6:7], v[70:71]
	s_delay_alu instid0(VALU_DEP_1) | instskip(NEXT) | instid1(VALU_DEP_1)
	v_mul_f64_e32 v[70:71], v[0:1], v[74:75]
	v_mul_f64_e32 v[76:77], v[10:11], v[70:71]
	ds_load_2addr_b64 v[70:73], v69 offset1:1
	s_wait_dscnt 0x0
	v_fmac_f64_e32 v[66:67], v[70:71], v[76:77]
	v_mul_f64_e32 v[70:71], v[2:3], v[74:75]
	s_delay_alu instid0(VALU_DEP_1) | instskip(NEXT) | instid1(VALU_DEP_1)
	v_mul_f64_e32 v[70:71], v[18:19], v[70:71]
	v_fmac_f64_e32 v[66:67], v[72:73], v[70:71]
	v_mul_f64_e32 v[70:71], v[20:21], v[74:75]
	s_delay_alu instid0(VALU_DEP_1) | instskip(SKIP_4) | instid1(VALU_DEP_1)
	v_mul_f64_e32 v[76:77], v[34:35], v[70:71]
	ds_load_2addr_b64 v[70:73], v69 offset0:2 offset1:3
	s_wait_dscnt 0x0
	v_fmac_f64_e32 v[66:67], v[70:71], v[76:77]
	v_mul_f64_e32 v[70:71], v[22:23], v[74:75]
	v_mul_f64_e32 v[70:71], v[42:43], v[70:71]
	s_delay_alu instid0(VALU_DEP_1) | instskip(SKIP_1) | instid1(VALU_DEP_1)
	v_fmac_f64_e32 v[66:67], v[72:73], v[70:71]
	v_mul_f64_e32 v[70:71], v[56:57], v[74:75]
	v_mul_f64_e32 v[74:75], v[50:51], v[70:71]
	ds_load_2addr_b64 v[70:73], v69 offset0:4 offset1:5
	s_wait_dscnt 0x0
	v_fmac_f64_e32 v[66:67], v[74:75], v[70:71]
	v_mul_f64_e32 v[70:71], v[26:27], v[64:65]
	s_delay_alu instid0(VALU_DEP_1) | instskip(NEXT) | instid1(VALU_DEP_1)
	v_mul_f64_e32 v[74:75], v[14:15], v[70:71]
	v_mul_f64_e32 v[70:71], v[0:1], v[74:75]
	s_delay_alu instid0(VALU_DEP_1) | instskip(NEXT) | instid1(VALU_DEP_1)
	v_mul_f64_e32 v[70:71], v[10:11], v[70:71]
	v_fmac_f64_e32 v[66:67], v[70:71], v[72:73]
	v_mul_f64_e32 v[70:71], v[2:3], v[74:75]
	s_delay_alu instid0(VALU_DEP_1) | instskip(SKIP_4) | instid1(VALU_DEP_1)
	v_mul_f64_e32 v[76:77], v[18:19], v[70:71]
	ds_load_2addr_b64 v[70:73], v69 offset0:6 offset1:7
	s_wait_dscnt 0x0
	v_fmac_f64_e32 v[66:67], v[76:77], v[70:71]
	v_mul_f64_e32 v[70:71], v[20:21], v[74:75]
	v_mul_f64_e32 v[70:71], v[34:35], v[70:71]
	s_delay_alu instid0(VALU_DEP_1) | instskip(SKIP_1) | instid1(VALU_DEP_1)
	v_fmac_f64_e32 v[66:67], v[70:71], v[72:73]
	v_mul_f64_e32 v[70:71], v[22:23], v[74:75]
	v_mul_f64_e32 v[76:77], v[42:43], v[70:71]
	ds_load_2addr_b64 v[70:73], v69 offset0:8 offset1:9
	s_wait_dscnt 0x0
	v_fmac_f64_e32 v[66:67], v[76:77], v[70:71]
	v_mul_f64_e32 v[70:71], v[56:57], v[74:75]
	s_delay_alu instid0(VALU_DEP_1) | instskip(NEXT) | instid1(VALU_DEP_1)
	v_mul_f64_e32 v[70:71], v[50:51], v[70:71]
	v_fmac_f64_e32 v[66:67], v[70:71], v[72:73]
	v_mul_f64_e32 v[70:71], v[52:53], v[64:65]
	s_delay_alu instid0(VALU_DEP_1) | instskip(NEXT) | instid1(VALU_DEP_1)
	v_mul_f64_e32 v[74:75], v[30:31], v[70:71]
	v_mul_f64_e32 v[70:71], v[0:1], v[74:75]
	s_delay_alu instid0(VALU_DEP_1) | instskip(SKIP_4) | instid1(VALU_DEP_1)
	v_mul_f64_e32 v[76:77], v[10:11], v[70:71]
	ds_load_2addr_b64 v[70:73], v69 offset0:10 offset1:11
	s_wait_dscnt 0x0
	v_fmac_f64_e32 v[66:67], v[76:77], v[70:71]
	v_mul_f64_e32 v[70:71], v[2:3], v[74:75]
	v_mul_f64_e32 v[70:71], v[18:19], v[70:71]
	s_delay_alu instid0(VALU_DEP_1) | instskip(SKIP_1) | instid1(VALU_DEP_1)
	v_fmac_f64_e32 v[66:67], v[70:71], v[72:73]
	v_mul_f64_e32 v[70:71], v[20:21], v[74:75]
	v_mul_f64_e32 v[76:77], v[34:35], v[70:71]
	ds_load_2addr_b64 v[70:73], v69 offset0:12 offset1:13
	s_wait_dscnt 0x0
	v_fmac_f64_e32 v[66:67], v[76:77], v[70:71]
	v_mul_f64_e32 v[70:71], v[22:23], v[74:75]
	s_delay_alu instid0(VALU_DEP_1) | instskip(NEXT) | instid1(VALU_DEP_1)
	v_mul_f64_e32 v[70:71], v[42:43], v[70:71]
	v_fmac_f64_e32 v[66:67], v[70:71], v[72:73]
	v_mul_f64_e32 v[70:71], v[56:57], v[74:75]
	s_delay_alu instid0(VALU_DEP_1)
	v_mul_f64_e32 v[74:75], v[50:51], v[70:71]
	ds_load_2addr_b64 v[70:73], v69 offset0:14 offset1:15
	s_wait_dscnt 0x0
	v_fmac_f64_e32 v[66:67], v[74:75], v[70:71]
	v_mul_f64_e32 v[70:71], v[54:55], v[64:65]
	v_mul_f64_e32 v[64:65], v[58:59], v[64:65]
	s_delay_alu instid0(VALU_DEP_2) | instskip(NEXT) | instid1(VALU_DEP_2)
	v_mul_f64_e32 v[74:75], v[38:39], v[70:71]
	v_mul_f64_e32 v[64:65], v[46:47], v[64:65]
	s_delay_alu instid0(VALU_DEP_2) | instskip(NEXT) | instid1(VALU_DEP_1)
	v_mul_f64_e32 v[70:71], v[0:1], v[74:75]
	v_mul_f64_e32 v[70:71], v[10:11], v[70:71]
	s_delay_alu instid0(VALU_DEP_1) | instskip(SKIP_1) | instid1(VALU_DEP_1)
	v_fmac_f64_e32 v[66:67], v[70:71], v[72:73]
	v_mul_f64_e32 v[70:71], v[2:3], v[74:75]
	v_mul_f64_e32 v[76:77], v[18:19], v[70:71]
	ds_load_2addr_b64 v[70:73], v69 offset0:16 offset1:17
	s_wait_dscnt 0x0
	v_fmac_f64_e32 v[66:67], v[76:77], v[70:71]
	v_mul_f64_e32 v[70:71], v[20:21], v[74:75]
	s_delay_alu instid0(VALU_DEP_1) | instskip(NEXT) | instid1(VALU_DEP_1)
	v_mul_f64_e32 v[70:71], v[34:35], v[70:71]
	v_fmac_f64_e32 v[66:67], v[70:71], v[72:73]
	v_mul_f64_e32 v[70:71], v[22:23], v[74:75]
	s_delay_alu instid0(VALU_DEP_1) | instskip(SKIP_4) | instid1(VALU_DEP_1)
	v_mul_f64_e32 v[76:77], v[42:43], v[70:71]
	ds_load_2addr_b64 v[70:73], v69 offset0:18 offset1:19
	s_wait_dscnt 0x0
	v_fmac_f64_e32 v[66:67], v[76:77], v[70:71]
	v_mul_f64_e32 v[70:71], v[56:57], v[74:75]
	v_mul_f64_e32 v[70:71], v[50:51], v[70:71]
	s_delay_alu instid0(VALU_DEP_1) | instskip(SKIP_1) | instid1(VALU_DEP_1)
	v_fmac_f64_e32 v[66:67], v[70:71], v[72:73]
	v_mul_f64_e32 v[70:71], v[0:1], v[64:65]
	v_mul_f64_e32 v[74:75], v[10:11], v[70:71]
	ds_load_2addr_b64 v[70:73], v69 offset0:20 offset1:21
	s_wait_dscnt 0x0
	v_fmac_f64_e32 v[66:67], v[74:75], v[70:71]
	v_mul_f64_e32 v[70:71], v[2:3], v[64:65]
	s_delay_alu instid0(VALU_DEP_1) | instskip(NEXT) | instid1(VALU_DEP_1)
	v_mul_f64_e32 v[70:71], v[18:19], v[70:71]
	v_fmac_f64_e32 v[66:67], v[70:71], v[72:73]
	v_mul_f64_e32 v[70:71], v[20:21], v[64:65]
	s_delay_alu instid0(VALU_DEP_1)
	v_mul_f64_e32 v[74:75], v[34:35], v[70:71]
	ds_load_2addr_b64 v[70:73], v69 offset0:22 offset1:23
	s_wait_dscnt 0x0
	v_fmac_f64_e32 v[66:67], v[74:75], v[70:71]
	v_mul_f64_e32 v[70:71], v[22:23], v[64:65]
	v_mul_f64_e32 v[64:65], v[56:57], v[64:65]
	s_delay_alu instid0(VALU_DEP_2) | instskip(NEXT) | instid1(VALU_DEP_2)
	v_mul_f64_e32 v[70:71], v[42:43], v[70:71]
	v_mul_f64_e32 v[64:65], v[50:51], v[64:65]
	s_delay_alu instid0(VALU_DEP_2)
	v_fmac_f64_e32 v[66:67], v[70:71], v[72:73]
	ds_load_b64 v[70:71], v69 offset:192
	s_wait_dscnt 0x0
	v_fmac_f64_e32 v[66:67], v[64:65], v[70:71]
	s_cbranch_scc1 .LBB1_39
; %bb.40:                               ;   in Loop: Header=BB1_24 Depth=1
	v_mov_b64_e32 v[64:65], 0
	s_mov_b64 s[2:3], 5
	s_mov_b32 s5, 0
	s_mov_b32 s6, 0
	global_store_b64 v[62:63], v[66:67], off offset:26624
.LBB1_41:                               ;   Parent Loop BB1_24 Depth=1
                                        ; =>  This Inner Loop Header: Depth=2
	s_add_co_i32 s7, s4, s5
	s_wait_xcnt 0x0
	v_dual_mov_b32 v69, s7 :: v_dual_add_nc_u32 v66, s5, v68
	s_add_nc_u64 s[2:3], s[2:3], -1
	s_add_co_i32 s5, s5, 32
	ds_load_b64 v[66:67], v66
	ds_load_b64 v[70:71], v69
	v_mov_b32_e32 v69, s6
	s_addk_co_i32 s6, 0xc8
	s_cmp_lg_u64 s[2:3], 0
	s_wait_dscnt 0x0
	v_mul_f64_e32 v[66:67], v[66:67], v[70:71]
	s_delay_alu instid0(VALU_DEP_1) | instskip(NEXT) | instid1(VALU_DEP_1)
	v_mul_f64_e32 v[70:71], v[24:25], v[66:67]
	v_mul_f64_e32 v[74:75], v[8:9], v[70:71]
	s_delay_alu instid0(VALU_DEP_1) | instskip(NEXT) | instid1(VALU_DEP_1)
	v_mul_f64_e32 v[70:71], v[0:1], v[74:75]
	v_mul_f64_e32 v[76:77], v[4:5], v[70:71]
	ds_load_2addr_b64 v[70:73], v69 offset1:1
	s_wait_dscnt 0x0
	v_fmac_f64_e32 v[64:65], v[70:71], v[76:77]
	v_mul_f64_e32 v[70:71], v[2:3], v[74:75]
	s_delay_alu instid0(VALU_DEP_1) | instskip(NEXT) | instid1(VALU_DEP_1)
	v_mul_f64_e32 v[70:71], v[12:13], v[70:71]
	v_fmac_f64_e32 v[64:65], v[72:73], v[70:71]
	v_mul_f64_e32 v[70:71], v[20:21], v[74:75]
	s_delay_alu instid0(VALU_DEP_1) | instskip(SKIP_4) | instid1(VALU_DEP_1)
	v_mul_f64_e32 v[76:77], v[28:29], v[70:71]
	ds_load_2addr_b64 v[70:73], v69 offset0:2 offset1:3
	s_wait_dscnt 0x0
	v_fmac_f64_e32 v[64:65], v[70:71], v[76:77]
	v_mul_f64_e32 v[70:71], v[22:23], v[74:75]
	v_mul_f64_e32 v[70:71], v[36:37], v[70:71]
	s_delay_alu instid0(VALU_DEP_1) | instskip(SKIP_1) | instid1(VALU_DEP_1)
	v_fmac_f64_e32 v[64:65], v[72:73], v[70:71]
	v_mul_f64_e32 v[70:71], v[56:57], v[74:75]
	v_mul_f64_e32 v[74:75], v[44:45], v[70:71]
	ds_load_2addr_b64 v[70:73], v69 offset0:4 offset1:5
	s_wait_dscnt 0x0
	v_fmac_f64_e32 v[64:65], v[74:75], v[70:71]
	v_mul_f64_e32 v[70:71], v[26:27], v[66:67]
	s_delay_alu instid0(VALU_DEP_1) | instskip(NEXT) | instid1(VALU_DEP_1)
	v_mul_f64_e32 v[74:75], v[16:17], v[70:71]
	v_mul_f64_e32 v[70:71], v[0:1], v[74:75]
	s_delay_alu instid0(VALU_DEP_1) | instskip(NEXT) | instid1(VALU_DEP_1)
	v_mul_f64_e32 v[70:71], v[4:5], v[70:71]
	v_fmac_f64_e32 v[64:65], v[70:71], v[72:73]
	v_mul_f64_e32 v[70:71], v[2:3], v[74:75]
	s_delay_alu instid0(VALU_DEP_1) | instskip(SKIP_4) | instid1(VALU_DEP_1)
	v_mul_f64_e32 v[76:77], v[12:13], v[70:71]
	ds_load_2addr_b64 v[70:73], v69 offset0:6 offset1:7
	s_wait_dscnt 0x0
	v_fmac_f64_e32 v[64:65], v[76:77], v[70:71]
	v_mul_f64_e32 v[70:71], v[20:21], v[74:75]
	v_mul_f64_e32 v[70:71], v[28:29], v[70:71]
	s_delay_alu instid0(VALU_DEP_1) | instskip(SKIP_1) | instid1(VALU_DEP_1)
	v_fmac_f64_e32 v[64:65], v[70:71], v[72:73]
	v_mul_f64_e32 v[70:71], v[22:23], v[74:75]
	v_mul_f64_e32 v[76:77], v[36:37], v[70:71]
	ds_load_2addr_b64 v[70:73], v69 offset0:8 offset1:9
	s_wait_dscnt 0x0
	v_fmac_f64_e32 v[64:65], v[76:77], v[70:71]
	v_mul_f64_e32 v[70:71], v[56:57], v[74:75]
	s_delay_alu instid0(VALU_DEP_1) | instskip(NEXT) | instid1(VALU_DEP_1)
	v_mul_f64_e32 v[70:71], v[44:45], v[70:71]
	v_fmac_f64_e32 v[64:65], v[70:71], v[72:73]
	v_mul_f64_e32 v[70:71], v[52:53], v[66:67]
	s_delay_alu instid0(VALU_DEP_1) | instskip(NEXT) | instid1(VALU_DEP_1)
	v_mul_f64_e32 v[74:75], v[32:33], v[70:71]
	v_mul_f64_e32 v[70:71], v[0:1], v[74:75]
	s_delay_alu instid0(VALU_DEP_1) | instskip(SKIP_4) | instid1(VALU_DEP_1)
	v_mul_f64_e32 v[76:77], v[4:5], v[70:71]
	ds_load_2addr_b64 v[70:73], v69 offset0:10 offset1:11
	s_wait_dscnt 0x0
	v_fmac_f64_e32 v[64:65], v[76:77], v[70:71]
	v_mul_f64_e32 v[70:71], v[2:3], v[74:75]
	v_mul_f64_e32 v[70:71], v[12:13], v[70:71]
	s_delay_alu instid0(VALU_DEP_1) | instskip(SKIP_1) | instid1(VALU_DEP_1)
	v_fmac_f64_e32 v[64:65], v[70:71], v[72:73]
	v_mul_f64_e32 v[70:71], v[20:21], v[74:75]
	v_mul_f64_e32 v[76:77], v[28:29], v[70:71]
	ds_load_2addr_b64 v[70:73], v69 offset0:12 offset1:13
	s_wait_dscnt 0x0
	v_fmac_f64_e32 v[64:65], v[76:77], v[70:71]
	v_mul_f64_e32 v[70:71], v[22:23], v[74:75]
	s_delay_alu instid0(VALU_DEP_1) | instskip(NEXT) | instid1(VALU_DEP_1)
	v_mul_f64_e32 v[70:71], v[36:37], v[70:71]
	v_fmac_f64_e32 v[64:65], v[70:71], v[72:73]
	v_mul_f64_e32 v[70:71], v[56:57], v[74:75]
	s_delay_alu instid0(VALU_DEP_1)
	v_mul_f64_e32 v[74:75], v[44:45], v[70:71]
	ds_load_2addr_b64 v[70:73], v69 offset0:14 offset1:15
	s_wait_dscnt 0x0
	v_fmac_f64_e32 v[64:65], v[74:75], v[70:71]
	v_mul_f64_e32 v[70:71], v[54:55], v[66:67]
	v_mul_f64_e32 v[66:67], v[58:59], v[66:67]
	s_delay_alu instid0(VALU_DEP_2) | instskip(NEXT) | instid1(VALU_DEP_2)
	v_mul_f64_e32 v[74:75], v[40:41], v[70:71]
	v_mul_f64_e32 v[66:67], v[48:49], v[66:67]
	s_delay_alu instid0(VALU_DEP_2) | instskip(NEXT) | instid1(VALU_DEP_1)
	v_mul_f64_e32 v[70:71], v[0:1], v[74:75]
	v_mul_f64_e32 v[70:71], v[4:5], v[70:71]
	s_delay_alu instid0(VALU_DEP_1) | instskip(SKIP_1) | instid1(VALU_DEP_1)
	v_fmac_f64_e32 v[64:65], v[70:71], v[72:73]
	v_mul_f64_e32 v[70:71], v[2:3], v[74:75]
	v_mul_f64_e32 v[76:77], v[12:13], v[70:71]
	ds_load_2addr_b64 v[70:73], v69 offset0:16 offset1:17
	s_wait_dscnt 0x0
	v_fmac_f64_e32 v[64:65], v[76:77], v[70:71]
	v_mul_f64_e32 v[70:71], v[20:21], v[74:75]
	s_delay_alu instid0(VALU_DEP_1) | instskip(NEXT) | instid1(VALU_DEP_1)
	v_mul_f64_e32 v[70:71], v[28:29], v[70:71]
	v_fmac_f64_e32 v[64:65], v[70:71], v[72:73]
	v_mul_f64_e32 v[70:71], v[22:23], v[74:75]
	s_delay_alu instid0(VALU_DEP_1) | instskip(SKIP_4) | instid1(VALU_DEP_1)
	v_mul_f64_e32 v[76:77], v[36:37], v[70:71]
	ds_load_2addr_b64 v[70:73], v69 offset0:18 offset1:19
	s_wait_dscnt 0x0
	v_fmac_f64_e32 v[64:65], v[76:77], v[70:71]
	v_mul_f64_e32 v[70:71], v[56:57], v[74:75]
	v_mul_f64_e32 v[70:71], v[44:45], v[70:71]
	s_delay_alu instid0(VALU_DEP_1) | instskip(SKIP_1) | instid1(VALU_DEP_1)
	v_fmac_f64_e32 v[64:65], v[70:71], v[72:73]
	v_mul_f64_e32 v[70:71], v[0:1], v[66:67]
	v_mul_f64_e32 v[74:75], v[4:5], v[70:71]
	ds_load_2addr_b64 v[70:73], v69 offset0:20 offset1:21
	s_wait_dscnt 0x0
	v_fmac_f64_e32 v[64:65], v[74:75], v[70:71]
	v_mul_f64_e32 v[70:71], v[2:3], v[66:67]
	s_delay_alu instid0(VALU_DEP_1) | instskip(NEXT) | instid1(VALU_DEP_1)
	v_mul_f64_e32 v[70:71], v[12:13], v[70:71]
	v_fmac_f64_e32 v[64:65], v[70:71], v[72:73]
	v_mul_f64_e32 v[70:71], v[20:21], v[66:67]
	s_delay_alu instid0(VALU_DEP_1)
	v_mul_f64_e32 v[74:75], v[28:29], v[70:71]
	ds_load_2addr_b64 v[70:73], v69 offset0:22 offset1:23
	s_wait_dscnt 0x0
	v_fmac_f64_e32 v[64:65], v[74:75], v[70:71]
	v_mul_f64_e32 v[70:71], v[22:23], v[66:67]
	v_mul_f64_e32 v[66:67], v[56:57], v[66:67]
	s_delay_alu instid0(VALU_DEP_2) | instskip(NEXT) | instid1(VALU_DEP_2)
	v_mul_f64_e32 v[70:71], v[36:37], v[70:71]
	v_mul_f64_e32 v[66:67], v[44:45], v[66:67]
	s_delay_alu instid0(VALU_DEP_2)
	v_fmac_f64_e32 v[64:65], v[70:71], v[72:73]
	ds_load_b64 v[70:71], v69 offset:192
	s_wait_dscnt 0x0
	v_fmac_f64_e32 v[64:65], v[66:67], v[70:71]
	s_cbranch_scc1 .LBB1_41
; %bb.42:                               ;   in Loop: Header=BB1_24 Depth=1
	v_mov_b64_e32 v[66:67], 0
	s_mov_b64 s[2:3], 5
	s_mov_b32 s5, 0
	s_mov_b32 s6, 0
	global_store_b64 v[62:63], v[64:65], off offset:4096
.LBB1_43:                               ;   Parent Loop BB1_24 Depth=1
                                        ; =>  This Inner Loop Header: Depth=2
	s_add_co_i32 s7, s4, s5
	s_wait_xcnt 0x0
	v_dual_mov_b32 v69, s7 :: v_dual_add_nc_u32 v64, s5, v68
	s_add_nc_u64 s[2:3], s[2:3], -1
	s_add_co_i32 s5, s5, 32
	ds_load_b64 v[64:65], v64
	ds_load_b64 v[70:71], v69
	v_mov_b32_e32 v69, s6
	s_addk_co_i32 s6, 0xc8
	s_cmp_lg_u64 s[2:3], 0
	s_wait_dscnt 0x0
	v_mul_f64_e32 v[64:65], v[64:65], v[70:71]
	s_delay_alu instid0(VALU_DEP_1) | instskip(NEXT) | instid1(VALU_DEP_1)
	v_mul_f64_e32 v[70:71], v[24:25], v[64:65]
	v_mul_f64_e32 v[74:75], v[8:9], v[70:71]
	s_delay_alu instid0(VALU_DEP_1) | instskip(NEXT) | instid1(VALU_DEP_1)
	v_mul_f64_e32 v[70:71], v[0:1], v[74:75]
	v_mul_f64_e32 v[76:77], v[6:7], v[70:71]
	ds_load_2addr_b64 v[70:73], v69 offset1:1
	s_wait_dscnt 0x0
	v_fmac_f64_e32 v[66:67], v[70:71], v[76:77]
	v_mul_f64_e32 v[70:71], v[2:3], v[74:75]
	s_delay_alu instid0(VALU_DEP_1) | instskip(NEXT) | instid1(VALU_DEP_1)
	v_mul_f64_e32 v[70:71], v[14:15], v[70:71]
	v_fmac_f64_e32 v[66:67], v[72:73], v[70:71]
	v_mul_f64_e32 v[70:71], v[20:21], v[74:75]
	s_delay_alu instid0(VALU_DEP_1) | instskip(SKIP_4) | instid1(VALU_DEP_1)
	v_mul_f64_e32 v[76:77], v[30:31], v[70:71]
	ds_load_2addr_b64 v[70:73], v69 offset0:2 offset1:3
	s_wait_dscnt 0x0
	v_fmac_f64_e32 v[66:67], v[70:71], v[76:77]
	v_mul_f64_e32 v[70:71], v[22:23], v[74:75]
	v_mul_f64_e32 v[70:71], v[38:39], v[70:71]
	s_delay_alu instid0(VALU_DEP_1) | instskip(SKIP_1) | instid1(VALU_DEP_1)
	v_fmac_f64_e32 v[66:67], v[72:73], v[70:71]
	v_mul_f64_e32 v[70:71], v[56:57], v[74:75]
	v_mul_f64_e32 v[74:75], v[46:47], v[70:71]
	ds_load_2addr_b64 v[70:73], v69 offset0:4 offset1:5
	s_wait_dscnt 0x0
	v_fmac_f64_e32 v[66:67], v[74:75], v[70:71]
	v_mul_f64_e32 v[70:71], v[26:27], v[64:65]
	s_delay_alu instid0(VALU_DEP_1) | instskip(NEXT) | instid1(VALU_DEP_1)
	v_mul_f64_e32 v[74:75], v[16:17], v[70:71]
	v_mul_f64_e32 v[70:71], v[0:1], v[74:75]
	s_delay_alu instid0(VALU_DEP_1) | instskip(NEXT) | instid1(VALU_DEP_1)
	v_mul_f64_e32 v[70:71], v[6:7], v[70:71]
	v_fmac_f64_e32 v[66:67], v[70:71], v[72:73]
	v_mul_f64_e32 v[70:71], v[2:3], v[74:75]
	s_delay_alu instid0(VALU_DEP_1) | instskip(SKIP_4) | instid1(VALU_DEP_1)
	v_mul_f64_e32 v[76:77], v[14:15], v[70:71]
	ds_load_2addr_b64 v[70:73], v69 offset0:6 offset1:7
	s_wait_dscnt 0x0
	v_fmac_f64_e32 v[66:67], v[76:77], v[70:71]
	v_mul_f64_e32 v[70:71], v[20:21], v[74:75]
	v_mul_f64_e32 v[70:71], v[30:31], v[70:71]
	s_delay_alu instid0(VALU_DEP_1) | instskip(SKIP_1) | instid1(VALU_DEP_1)
	v_fmac_f64_e32 v[66:67], v[70:71], v[72:73]
	v_mul_f64_e32 v[70:71], v[22:23], v[74:75]
	v_mul_f64_e32 v[76:77], v[38:39], v[70:71]
	ds_load_2addr_b64 v[70:73], v69 offset0:8 offset1:9
	s_wait_dscnt 0x0
	v_fmac_f64_e32 v[66:67], v[76:77], v[70:71]
	v_mul_f64_e32 v[70:71], v[56:57], v[74:75]
	s_delay_alu instid0(VALU_DEP_1) | instskip(NEXT) | instid1(VALU_DEP_1)
	v_mul_f64_e32 v[70:71], v[46:47], v[70:71]
	v_fmac_f64_e32 v[66:67], v[70:71], v[72:73]
	v_mul_f64_e32 v[70:71], v[52:53], v[64:65]
	s_delay_alu instid0(VALU_DEP_1) | instskip(NEXT) | instid1(VALU_DEP_1)
	v_mul_f64_e32 v[74:75], v[32:33], v[70:71]
	v_mul_f64_e32 v[70:71], v[0:1], v[74:75]
	s_delay_alu instid0(VALU_DEP_1) | instskip(SKIP_4) | instid1(VALU_DEP_1)
	v_mul_f64_e32 v[76:77], v[6:7], v[70:71]
	ds_load_2addr_b64 v[70:73], v69 offset0:10 offset1:11
	s_wait_dscnt 0x0
	v_fmac_f64_e32 v[66:67], v[76:77], v[70:71]
	v_mul_f64_e32 v[70:71], v[2:3], v[74:75]
	v_mul_f64_e32 v[70:71], v[14:15], v[70:71]
	s_delay_alu instid0(VALU_DEP_1) | instskip(SKIP_1) | instid1(VALU_DEP_1)
	v_fmac_f64_e32 v[66:67], v[70:71], v[72:73]
	v_mul_f64_e32 v[70:71], v[20:21], v[74:75]
	v_mul_f64_e32 v[76:77], v[30:31], v[70:71]
	ds_load_2addr_b64 v[70:73], v69 offset0:12 offset1:13
	s_wait_dscnt 0x0
	v_fmac_f64_e32 v[66:67], v[76:77], v[70:71]
	v_mul_f64_e32 v[70:71], v[22:23], v[74:75]
	s_delay_alu instid0(VALU_DEP_1) | instskip(NEXT) | instid1(VALU_DEP_1)
	v_mul_f64_e32 v[70:71], v[38:39], v[70:71]
	v_fmac_f64_e32 v[66:67], v[70:71], v[72:73]
	v_mul_f64_e32 v[70:71], v[56:57], v[74:75]
	s_delay_alu instid0(VALU_DEP_1)
	v_mul_f64_e32 v[74:75], v[46:47], v[70:71]
	ds_load_2addr_b64 v[70:73], v69 offset0:14 offset1:15
	s_wait_dscnt 0x0
	v_fmac_f64_e32 v[66:67], v[74:75], v[70:71]
	v_mul_f64_e32 v[70:71], v[54:55], v[64:65]
	v_mul_f64_e32 v[64:65], v[58:59], v[64:65]
	s_delay_alu instid0(VALU_DEP_2) | instskip(NEXT) | instid1(VALU_DEP_2)
	v_mul_f64_e32 v[74:75], v[40:41], v[70:71]
	v_mul_f64_e32 v[64:65], v[48:49], v[64:65]
	s_delay_alu instid0(VALU_DEP_2) | instskip(NEXT) | instid1(VALU_DEP_1)
	v_mul_f64_e32 v[70:71], v[0:1], v[74:75]
	v_mul_f64_e32 v[70:71], v[6:7], v[70:71]
	s_delay_alu instid0(VALU_DEP_1) | instskip(SKIP_1) | instid1(VALU_DEP_1)
	v_fmac_f64_e32 v[66:67], v[70:71], v[72:73]
	v_mul_f64_e32 v[70:71], v[2:3], v[74:75]
	v_mul_f64_e32 v[76:77], v[14:15], v[70:71]
	ds_load_2addr_b64 v[70:73], v69 offset0:16 offset1:17
	s_wait_dscnt 0x0
	v_fmac_f64_e32 v[66:67], v[76:77], v[70:71]
	v_mul_f64_e32 v[70:71], v[20:21], v[74:75]
	s_delay_alu instid0(VALU_DEP_1) | instskip(NEXT) | instid1(VALU_DEP_1)
	v_mul_f64_e32 v[70:71], v[30:31], v[70:71]
	v_fmac_f64_e32 v[66:67], v[70:71], v[72:73]
	v_mul_f64_e32 v[70:71], v[22:23], v[74:75]
	s_delay_alu instid0(VALU_DEP_1) | instskip(SKIP_4) | instid1(VALU_DEP_1)
	v_mul_f64_e32 v[76:77], v[38:39], v[70:71]
	ds_load_2addr_b64 v[70:73], v69 offset0:18 offset1:19
	s_wait_dscnt 0x0
	v_fmac_f64_e32 v[66:67], v[76:77], v[70:71]
	v_mul_f64_e32 v[70:71], v[56:57], v[74:75]
	v_mul_f64_e32 v[70:71], v[46:47], v[70:71]
	s_delay_alu instid0(VALU_DEP_1) | instskip(SKIP_1) | instid1(VALU_DEP_1)
	v_fmac_f64_e32 v[66:67], v[70:71], v[72:73]
	v_mul_f64_e32 v[70:71], v[0:1], v[64:65]
	v_mul_f64_e32 v[74:75], v[6:7], v[70:71]
	ds_load_2addr_b64 v[70:73], v69 offset0:20 offset1:21
	s_wait_dscnt 0x0
	v_fmac_f64_e32 v[66:67], v[74:75], v[70:71]
	v_mul_f64_e32 v[70:71], v[2:3], v[64:65]
	s_delay_alu instid0(VALU_DEP_1) | instskip(NEXT) | instid1(VALU_DEP_1)
	v_mul_f64_e32 v[70:71], v[14:15], v[70:71]
	v_fmac_f64_e32 v[66:67], v[70:71], v[72:73]
	v_mul_f64_e32 v[70:71], v[20:21], v[64:65]
	s_delay_alu instid0(VALU_DEP_1)
	v_mul_f64_e32 v[74:75], v[30:31], v[70:71]
	ds_load_2addr_b64 v[70:73], v69 offset0:22 offset1:23
	s_wait_dscnt 0x0
	v_fmac_f64_e32 v[66:67], v[74:75], v[70:71]
	v_mul_f64_e32 v[70:71], v[22:23], v[64:65]
	v_mul_f64_e32 v[64:65], v[56:57], v[64:65]
	s_delay_alu instid0(VALU_DEP_2) | instskip(NEXT) | instid1(VALU_DEP_2)
	v_mul_f64_e32 v[70:71], v[38:39], v[70:71]
	v_mul_f64_e32 v[64:65], v[46:47], v[64:65]
	s_delay_alu instid0(VALU_DEP_2)
	v_fmac_f64_e32 v[66:67], v[70:71], v[72:73]
	ds_load_b64 v[70:71], v69 offset:192
	s_wait_dscnt 0x0
	v_fmac_f64_e32 v[66:67], v[64:65], v[70:71]
	s_cbranch_scc1 .LBB1_43
; %bb.44:                               ;   in Loop: Header=BB1_24 Depth=1
	v_mov_b64_e32 v[64:65], 0
	s_mov_b64 s[2:3], 5
	s_mov_b32 s5, 0
	s_mov_b32 s6, 0
	global_store_b64 v[62:63], v[66:67], off offset:12288
.LBB1_45:                               ;   Parent Loop BB1_24 Depth=1
                                        ; =>  This Inner Loop Header: Depth=2
	s_add_co_i32 s7, s4, s5
	s_wait_xcnt 0x0
	v_dual_mov_b32 v69, s7 :: v_dual_add_nc_u32 v66, s5, v68
	s_add_nc_u64 s[2:3], s[2:3], -1
	s_add_co_i32 s5, s5, 32
	ds_load_b64 v[66:67], v66
	ds_load_b64 v[70:71], v69
	v_mov_b32_e32 v69, s6
	s_addk_co_i32 s6, 0xc8
	s_cmp_lg_u64 s[2:3], 0
	s_wait_dscnt 0x0
	v_mul_f64_e32 v[66:67], v[66:67], v[70:71]
	s_delay_alu instid0(VALU_DEP_1) | instskip(NEXT) | instid1(VALU_DEP_1)
	v_mul_f64_e32 v[70:71], v[24:25], v[66:67]
	v_mul_f64_e32 v[74:75], v[8:9], v[70:71]
	s_delay_alu instid0(VALU_DEP_1) | instskip(NEXT) | instid1(VALU_DEP_1)
	v_mul_f64_e32 v[70:71], v[0:1], v[74:75]
	v_mul_f64_e32 v[76:77], v[8:9], v[70:71]
	ds_load_2addr_b64 v[70:73], v69 offset1:1
	s_wait_dscnt 0x0
	v_fmac_f64_e32 v[64:65], v[70:71], v[76:77]
	v_mul_f64_e32 v[70:71], v[2:3], v[74:75]
	s_delay_alu instid0(VALU_DEP_1) | instskip(NEXT) | instid1(VALU_DEP_1)
	v_mul_f64_e32 v[70:71], v[16:17], v[70:71]
	v_fmac_f64_e32 v[64:65], v[72:73], v[70:71]
	v_mul_f64_e32 v[70:71], v[20:21], v[74:75]
	s_delay_alu instid0(VALU_DEP_1) | instskip(SKIP_4) | instid1(VALU_DEP_1)
	v_mul_f64_e32 v[76:77], v[32:33], v[70:71]
	ds_load_2addr_b64 v[70:73], v69 offset0:2 offset1:3
	s_wait_dscnt 0x0
	v_fmac_f64_e32 v[64:65], v[70:71], v[76:77]
	v_mul_f64_e32 v[70:71], v[22:23], v[74:75]
	v_mul_f64_e32 v[70:71], v[40:41], v[70:71]
	s_delay_alu instid0(VALU_DEP_1) | instskip(SKIP_1) | instid1(VALU_DEP_1)
	v_fmac_f64_e32 v[64:65], v[72:73], v[70:71]
	v_mul_f64_e32 v[70:71], v[56:57], v[74:75]
	v_mul_f64_e32 v[74:75], v[48:49], v[70:71]
	ds_load_2addr_b64 v[70:73], v69 offset0:4 offset1:5
	s_wait_dscnt 0x0
	v_fmac_f64_e32 v[64:65], v[74:75], v[70:71]
	v_mul_f64_e32 v[70:71], v[26:27], v[66:67]
	s_delay_alu instid0(VALU_DEP_1) | instskip(NEXT) | instid1(VALU_DEP_1)
	v_mul_f64_e32 v[74:75], v[16:17], v[70:71]
	v_mul_f64_e32 v[70:71], v[0:1], v[74:75]
	s_delay_alu instid0(VALU_DEP_1) | instskip(NEXT) | instid1(VALU_DEP_1)
	v_mul_f64_e32 v[70:71], v[8:9], v[70:71]
	v_fmac_f64_e32 v[64:65], v[70:71], v[72:73]
	v_mul_f64_e32 v[70:71], v[2:3], v[74:75]
	s_delay_alu instid0(VALU_DEP_1) | instskip(SKIP_4) | instid1(VALU_DEP_1)
	v_mul_f64_e32 v[76:77], v[16:17], v[70:71]
	ds_load_2addr_b64 v[70:73], v69 offset0:6 offset1:7
	s_wait_dscnt 0x0
	v_fmac_f64_e32 v[64:65], v[76:77], v[70:71]
	v_mul_f64_e32 v[70:71], v[20:21], v[74:75]
	v_mul_f64_e32 v[70:71], v[32:33], v[70:71]
	s_delay_alu instid0(VALU_DEP_1) | instskip(SKIP_1) | instid1(VALU_DEP_1)
	v_fmac_f64_e32 v[64:65], v[70:71], v[72:73]
	v_mul_f64_e32 v[70:71], v[22:23], v[74:75]
	v_mul_f64_e32 v[76:77], v[40:41], v[70:71]
	ds_load_2addr_b64 v[70:73], v69 offset0:8 offset1:9
	s_wait_dscnt 0x0
	v_fmac_f64_e32 v[64:65], v[76:77], v[70:71]
	v_mul_f64_e32 v[70:71], v[56:57], v[74:75]
	s_delay_alu instid0(VALU_DEP_1) | instskip(NEXT) | instid1(VALU_DEP_1)
	v_mul_f64_e32 v[70:71], v[48:49], v[70:71]
	v_fmac_f64_e32 v[64:65], v[70:71], v[72:73]
	v_mul_f64_e32 v[70:71], v[52:53], v[66:67]
	s_delay_alu instid0(VALU_DEP_1) | instskip(NEXT) | instid1(VALU_DEP_1)
	v_mul_f64_e32 v[74:75], v[32:33], v[70:71]
	v_mul_f64_e32 v[70:71], v[0:1], v[74:75]
	s_delay_alu instid0(VALU_DEP_1) | instskip(SKIP_4) | instid1(VALU_DEP_1)
	v_mul_f64_e32 v[76:77], v[8:9], v[70:71]
	ds_load_2addr_b64 v[70:73], v69 offset0:10 offset1:11
	s_wait_dscnt 0x0
	v_fmac_f64_e32 v[64:65], v[76:77], v[70:71]
	v_mul_f64_e32 v[70:71], v[2:3], v[74:75]
	v_mul_f64_e32 v[70:71], v[16:17], v[70:71]
	s_delay_alu instid0(VALU_DEP_1) | instskip(SKIP_1) | instid1(VALU_DEP_1)
	v_fmac_f64_e32 v[64:65], v[70:71], v[72:73]
	v_mul_f64_e32 v[70:71], v[20:21], v[74:75]
	v_mul_f64_e32 v[76:77], v[32:33], v[70:71]
	ds_load_2addr_b64 v[70:73], v69 offset0:12 offset1:13
	s_wait_dscnt 0x0
	v_fmac_f64_e32 v[64:65], v[76:77], v[70:71]
	v_mul_f64_e32 v[70:71], v[22:23], v[74:75]
	s_delay_alu instid0(VALU_DEP_1) | instskip(NEXT) | instid1(VALU_DEP_1)
	v_mul_f64_e32 v[70:71], v[40:41], v[70:71]
	v_fmac_f64_e32 v[64:65], v[70:71], v[72:73]
	v_mul_f64_e32 v[70:71], v[56:57], v[74:75]
	s_delay_alu instid0(VALU_DEP_1)
	v_mul_f64_e32 v[74:75], v[48:49], v[70:71]
	ds_load_2addr_b64 v[70:73], v69 offset0:14 offset1:15
	s_wait_dscnt 0x0
	v_fmac_f64_e32 v[64:65], v[74:75], v[70:71]
	v_mul_f64_e32 v[70:71], v[54:55], v[66:67]
	v_mul_f64_e32 v[66:67], v[58:59], v[66:67]
	s_delay_alu instid0(VALU_DEP_2) | instskip(NEXT) | instid1(VALU_DEP_2)
	v_mul_f64_e32 v[74:75], v[40:41], v[70:71]
	v_mul_f64_e32 v[66:67], v[48:49], v[66:67]
	s_delay_alu instid0(VALU_DEP_2) | instskip(NEXT) | instid1(VALU_DEP_1)
	v_mul_f64_e32 v[70:71], v[0:1], v[74:75]
	v_mul_f64_e32 v[70:71], v[8:9], v[70:71]
	s_delay_alu instid0(VALU_DEP_1) | instskip(SKIP_1) | instid1(VALU_DEP_1)
	v_fmac_f64_e32 v[64:65], v[70:71], v[72:73]
	v_mul_f64_e32 v[70:71], v[2:3], v[74:75]
	v_mul_f64_e32 v[76:77], v[16:17], v[70:71]
	ds_load_2addr_b64 v[70:73], v69 offset0:16 offset1:17
	s_wait_dscnt 0x0
	v_fmac_f64_e32 v[64:65], v[76:77], v[70:71]
	v_mul_f64_e32 v[70:71], v[20:21], v[74:75]
	s_delay_alu instid0(VALU_DEP_1) | instskip(NEXT) | instid1(VALU_DEP_1)
	v_mul_f64_e32 v[70:71], v[32:33], v[70:71]
	v_fmac_f64_e32 v[64:65], v[70:71], v[72:73]
	v_mul_f64_e32 v[70:71], v[22:23], v[74:75]
	s_delay_alu instid0(VALU_DEP_1) | instskip(SKIP_4) | instid1(VALU_DEP_1)
	v_mul_f64_e32 v[76:77], v[40:41], v[70:71]
	ds_load_2addr_b64 v[70:73], v69 offset0:18 offset1:19
	s_wait_dscnt 0x0
	v_fmac_f64_e32 v[64:65], v[76:77], v[70:71]
	v_mul_f64_e32 v[70:71], v[56:57], v[74:75]
	v_mul_f64_e32 v[70:71], v[48:49], v[70:71]
	s_delay_alu instid0(VALU_DEP_1) | instskip(SKIP_1) | instid1(VALU_DEP_1)
	v_fmac_f64_e32 v[64:65], v[70:71], v[72:73]
	v_mul_f64_e32 v[70:71], v[0:1], v[66:67]
	v_mul_f64_e32 v[74:75], v[8:9], v[70:71]
	ds_load_2addr_b64 v[70:73], v69 offset0:20 offset1:21
	s_wait_dscnt 0x0
	v_fmac_f64_e32 v[64:65], v[74:75], v[70:71]
	v_mul_f64_e32 v[70:71], v[2:3], v[66:67]
	s_delay_alu instid0(VALU_DEP_1) | instskip(NEXT) | instid1(VALU_DEP_1)
	v_mul_f64_e32 v[70:71], v[16:17], v[70:71]
	v_fmac_f64_e32 v[64:65], v[70:71], v[72:73]
	v_mul_f64_e32 v[70:71], v[20:21], v[66:67]
	s_delay_alu instid0(VALU_DEP_1)
	v_mul_f64_e32 v[74:75], v[32:33], v[70:71]
	ds_load_2addr_b64 v[70:73], v69 offset0:22 offset1:23
	s_wait_dscnt 0x0
	v_fmac_f64_e32 v[64:65], v[74:75], v[70:71]
	v_mul_f64_e32 v[70:71], v[22:23], v[66:67]
	v_mul_f64_e32 v[66:67], v[56:57], v[66:67]
	s_delay_alu instid0(VALU_DEP_2) | instskip(NEXT) | instid1(VALU_DEP_2)
	v_mul_f64_e32 v[70:71], v[40:41], v[70:71]
	v_mul_f64_e32 v[66:67], v[48:49], v[66:67]
	s_delay_alu instid0(VALU_DEP_2)
	v_fmac_f64_e32 v[64:65], v[70:71], v[72:73]
	ds_load_b64 v[70:71], v69 offset:192
	s_wait_dscnt 0x0
	v_fmac_f64_e32 v[64:65], v[66:67], v[70:71]
	s_cbranch_scc1 .LBB1_45
; %bb.46:                               ;   in Loop: Header=BB1_24 Depth=1
	v_mov_b64_e32 v[66:67], 0
	s_mov_b64 s[2:3], 5
	s_mov_b32 s5, 0
	s_mov_b32 s6, 0
	global_store_b64 v[62:63], v[64:65], off offset:20480
.LBB1_47:                               ;   Parent Loop BB1_24 Depth=1
                                        ; =>  This Inner Loop Header: Depth=2
	s_add_co_i32 s7, s4, s5
	s_wait_xcnt 0x0
	v_dual_mov_b32 v69, s7 :: v_dual_add_nc_u32 v64, s5, v68
	s_add_nc_u64 s[2:3], s[2:3], -1
	s_add_co_i32 s5, s5, 32
	ds_load_b64 v[64:65], v64
	ds_load_b64 v[70:71], v69
	v_mov_b32_e32 v69, s6
	s_addk_co_i32 s6, 0xc8
	s_cmp_lg_u64 s[2:3], 0
	s_wait_dscnt 0x0
	v_mul_f64_e32 v[64:65], v[64:65], v[70:71]
	s_delay_alu instid0(VALU_DEP_1) | instskip(NEXT) | instid1(VALU_DEP_1)
	v_mul_f64_e32 v[70:71], v[24:25], v[64:65]
	v_mul_f64_e32 v[74:75], v[8:9], v[70:71]
	s_delay_alu instid0(VALU_DEP_1) | instskip(NEXT) | instid1(VALU_DEP_1)
	v_mul_f64_e32 v[70:71], v[0:1], v[74:75]
	v_mul_f64_e32 v[76:77], v[10:11], v[70:71]
	ds_load_2addr_b64 v[70:73], v69 offset1:1
	s_wait_dscnt 0x0
	v_fmac_f64_e32 v[66:67], v[70:71], v[76:77]
	v_mul_f64_e32 v[70:71], v[2:3], v[74:75]
	s_delay_alu instid0(VALU_DEP_1) | instskip(NEXT) | instid1(VALU_DEP_1)
	v_mul_f64_e32 v[70:71], v[18:19], v[70:71]
	v_fmac_f64_e32 v[66:67], v[72:73], v[70:71]
	v_mul_f64_e32 v[70:71], v[20:21], v[74:75]
	s_delay_alu instid0(VALU_DEP_1) | instskip(SKIP_4) | instid1(VALU_DEP_1)
	v_mul_f64_e32 v[76:77], v[34:35], v[70:71]
	ds_load_2addr_b64 v[70:73], v69 offset0:2 offset1:3
	s_wait_dscnt 0x0
	v_fmac_f64_e32 v[66:67], v[70:71], v[76:77]
	v_mul_f64_e32 v[70:71], v[22:23], v[74:75]
	v_mul_f64_e32 v[70:71], v[42:43], v[70:71]
	s_delay_alu instid0(VALU_DEP_1) | instskip(SKIP_1) | instid1(VALU_DEP_1)
	v_fmac_f64_e32 v[66:67], v[72:73], v[70:71]
	v_mul_f64_e32 v[70:71], v[56:57], v[74:75]
	v_mul_f64_e32 v[74:75], v[50:51], v[70:71]
	ds_load_2addr_b64 v[70:73], v69 offset0:4 offset1:5
	s_wait_dscnt 0x0
	v_fmac_f64_e32 v[66:67], v[74:75], v[70:71]
	v_mul_f64_e32 v[70:71], v[26:27], v[64:65]
	s_delay_alu instid0(VALU_DEP_1) | instskip(NEXT) | instid1(VALU_DEP_1)
	v_mul_f64_e32 v[74:75], v[16:17], v[70:71]
	v_mul_f64_e32 v[70:71], v[0:1], v[74:75]
	s_delay_alu instid0(VALU_DEP_1) | instskip(NEXT) | instid1(VALU_DEP_1)
	v_mul_f64_e32 v[70:71], v[10:11], v[70:71]
	v_fmac_f64_e32 v[66:67], v[70:71], v[72:73]
	v_mul_f64_e32 v[70:71], v[2:3], v[74:75]
	s_delay_alu instid0(VALU_DEP_1) | instskip(SKIP_4) | instid1(VALU_DEP_1)
	v_mul_f64_e32 v[76:77], v[18:19], v[70:71]
	ds_load_2addr_b64 v[70:73], v69 offset0:6 offset1:7
	s_wait_dscnt 0x0
	v_fmac_f64_e32 v[66:67], v[76:77], v[70:71]
	v_mul_f64_e32 v[70:71], v[20:21], v[74:75]
	v_mul_f64_e32 v[70:71], v[34:35], v[70:71]
	s_delay_alu instid0(VALU_DEP_1) | instskip(SKIP_1) | instid1(VALU_DEP_1)
	v_fmac_f64_e32 v[66:67], v[70:71], v[72:73]
	v_mul_f64_e32 v[70:71], v[22:23], v[74:75]
	v_mul_f64_e32 v[76:77], v[42:43], v[70:71]
	ds_load_2addr_b64 v[70:73], v69 offset0:8 offset1:9
	s_wait_dscnt 0x0
	v_fmac_f64_e32 v[66:67], v[76:77], v[70:71]
	v_mul_f64_e32 v[70:71], v[56:57], v[74:75]
	s_delay_alu instid0(VALU_DEP_1) | instskip(NEXT) | instid1(VALU_DEP_1)
	v_mul_f64_e32 v[70:71], v[50:51], v[70:71]
	v_fmac_f64_e32 v[66:67], v[70:71], v[72:73]
	v_mul_f64_e32 v[70:71], v[52:53], v[64:65]
	s_delay_alu instid0(VALU_DEP_1) | instskip(NEXT) | instid1(VALU_DEP_1)
	v_mul_f64_e32 v[74:75], v[32:33], v[70:71]
	v_mul_f64_e32 v[70:71], v[0:1], v[74:75]
	s_delay_alu instid0(VALU_DEP_1) | instskip(SKIP_4) | instid1(VALU_DEP_1)
	v_mul_f64_e32 v[76:77], v[10:11], v[70:71]
	ds_load_2addr_b64 v[70:73], v69 offset0:10 offset1:11
	s_wait_dscnt 0x0
	v_fmac_f64_e32 v[66:67], v[76:77], v[70:71]
	v_mul_f64_e32 v[70:71], v[2:3], v[74:75]
	v_mul_f64_e32 v[70:71], v[18:19], v[70:71]
	s_delay_alu instid0(VALU_DEP_1) | instskip(SKIP_1) | instid1(VALU_DEP_1)
	v_fmac_f64_e32 v[66:67], v[70:71], v[72:73]
	v_mul_f64_e32 v[70:71], v[20:21], v[74:75]
	v_mul_f64_e32 v[76:77], v[34:35], v[70:71]
	ds_load_2addr_b64 v[70:73], v69 offset0:12 offset1:13
	s_wait_dscnt 0x0
	v_fmac_f64_e32 v[66:67], v[76:77], v[70:71]
	v_mul_f64_e32 v[70:71], v[22:23], v[74:75]
	s_delay_alu instid0(VALU_DEP_1) | instskip(NEXT) | instid1(VALU_DEP_1)
	v_mul_f64_e32 v[70:71], v[42:43], v[70:71]
	v_fmac_f64_e32 v[66:67], v[70:71], v[72:73]
	v_mul_f64_e32 v[70:71], v[56:57], v[74:75]
	s_delay_alu instid0(VALU_DEP_1)
	v_mul_f64_e32 v[74:75], v[50:51], v[70:71]
	ds_load_2addr_b64 v[70:73], v69 offset0:14 offset1:15
	s_wait_dscnt 0x0
	v_fmac_f64_e32 v[66:67], v[74:75], v[70:71]
	v_mul_f64_e32 v[70:71], v[54:55], v[64:65]
	v_mul_f64_e32 v[64:65], v[58:59], v[64:65]
	s_delay_alu instid0(VALU_DEP_2) | instskip(NEXT) | instid1(VALU_DEP_2)
	v_mul_f64_e32 v[74:75], v[40:41], v[70:71]
	v_mul_f64_e32 v[64:65], v[48:49], v[64:65]
	s_delay_alu instid0(VALU_DEP_2) | instskip(NEXT) | instid1(VALU_DEP_1)
	v_mul_f64_e32 v[70:71], v[0:1], v[74:75]
	v_mul_f64_e32 v[70:71], v[10:11], v[70:71]
	s_delay_alu instid0(VALU_DEP_1) | instskip(SKIP_1) | instid1(VALU_DEP_1)
	v_fmac_f64_e32 v[66:67], v[70:71], v[72:73]
	v_mul_f64_e32 v[70:71], v[2:3], v[74:75]
	v_mul_f64_e32 v[76:77], v[18:19], v[70:71]
	ds_load_2addr_b64 v[70:73], v69 offset0:16 offset1:17
	s_wait_dscnt 0x0
	v_fmac_f64_e32 v[66:67], v[76:77], v[70:71]
	v_mul_f64_e32 v[70:71], v[20:21], v[74:75]
	s_delay_alu instid0(VALU_DEP_1) | instskip(NEXT) | instid1(VALU_DEP_1)
	v_mul_f64_e32 v[70:71], v[34:35], v[70:71]
	v_fmac_f64_e32 v[66:67], v[70:71], v[72:73]
	v_mul_f64_e32 v[70:71], v[22:23], v[74:75]
	s_delay_alu instid0(VALU_DEP_1) | instskip(SKIP_4) | instid1(VALU_DEP_1)
	v_mul_f64_e32 v[76:77], v[42:43], v[70:71]
	ds_load_2addr_b64 v[70:73], v69 offset0:18 offset1:19
	s_wait_dscnt 0x0
	v_fmac_f64_e32 v[66:67], v[76:77], v[70:71]
	v_mul_f64_e32 v[70:71], v[56:57], v[74:75]
	v_mul_f64_e32 v[70:71], v[50:51], v[70:71]
	s_delay_alu instid0(VALU_DEP_1) | instskip(SKIP_1) | instid1(VALU_DEP_1)
	v_fmac_f64_e32 v[66:67], v[70:71], v[72:73]
	v_mul_f64_e32 v[70:71], v[0:1], v[64:65]
	v_mul_f64_e32 v[74:75], v[10:11], v[70:71]
	ds_load_2addr_b64 v[70:73], v69 offset0:20 offset1:21
	s_wait_dscnt 0x0
	v_fmac_f64_e32 v[66:67], v[74:75], v[70:71]
	v_mul_f64_e32 v[70:71], v[2:3], v[64:65]
	s_delay_alu instid0(VALU_DEP_1) | instskip(NEXT) | instid1(VALU_DEP_1)
	v_mul_f64_e32 v[70:71], v[18:19], v[70:71]
	v_fmac_f64_e32 v[66:67], v[70:71], v[72:73]
	v_mul_f64_e32 v[70:71], v[20:21], v[64:65]
	s_delay_alu instid0(VALU_DEP_1)
	v_mul_f64_e32 v[74:75], v[34:35], v[70:71]
	ds_load_2addr_b64 v[70:73], v69 offset0:22 offset1:23
	s_wait_dscnt 0x0
	v_fmac_f64_e32 v[66:67], v[74:75], v[70:71]
	v_mul_f64_e32 v[70:71], v[22:23], v[64:65]
	v_mul_f64_e32 v[64:65], v[56:57], v[64:65]
	s_delay_alu instid0(VALU_DEP_2) | instskip(NEXT) | instid1(VALU_DEP_2)
	v_mul_f64_e32 v[70:71], v[42:43], v[70:71]
	v_mul_f64_e32 v[64:65], v[50:51], v[64:65]
	s_delay_alu instid0(VALU_DEP_2)
	v_fmac_f64_e32 v[66:67], v[70:71], v[72:73]
	ds_load_b64 v[70:71], v69 offset:192
	s_wait_dscnt 0x0
	v_fmac_f64_e32 v[66:67], v[64:65], v[70:71]
	s_cbranch_scc1 .LBB1_47
; %bb.48:                               ;   in Loop: Header=BB1_24 Depth=1
	v_mov_b64_e32 v[64:65], 0
	s_mov_b64 s[2:3], 5
	s_mov_b32 s5, 0
	s_mov_b32 s6, 0
	global_store_b64 v[62:63], v[66:67], off offset:28672
.LBB1_49:                               ;   Parent Loop BB1_24 Depth=1
                                        ; =>  This Inner Loop Header: Depth=2
	s_add_co_i32 s7, s4, s5
	s_wait_xcnt 0x0
	v_dual_mov_b32 v69, s7 :: v_dual_add_nc_u32 v66, s5, v68
	s_add_nc_u64 s[2:3], s[2:3], -1
	s_add_co_i32 s5, s5, 32
	ds_load_b64 v[66:67], v66
	ds_load_b64 v[70:71], v69
	v_mov_b32_e32 v69, s6
	s_addk_co_i32 s6, 0xc8
	s_cmp_lg_u64 s[2:3], 0
	s_wait_dscnt 0x0
	v_mul_f64_e32 v[66:67], v[66:67], v[70:71]
	s_delay_alu instid0(VALU_DEP_1) | instskip(NEXT) | instid1(VALU_DEP_1)
	v_mul_f64_e32 v[70:71], v[24:25], v[66:67]
	v_mul_f64_e32 v[74:75], v[10:11], v[70:71]
	s_delay_alu instid0(VALU_DEP_1) | instskip(NEXT) | instid1(VALU_DEP_1)
	v_mul_f64_e32 v[70:71], v[0:1], v[74:75]
	v_mul_f64_e32 v[76:77], v[4:5], v[70:71]
	ds_load_2addr_b64 v[70:73], v69 offset1:1
	s_wait_dscnt 0x0
	v_fmac_f64_e32 v[64:65], v[70:71], v[76:77]
	v_mul_f64_e32 v[70:71], v[2:3], v[74:75]
	s_delay_alu instid0(VALU_DEP_1) | instskip(NEXT) | instid1(VALU_DEP_1)
	v_mul_f64_e32 v[70:71], v[12:13], v[70:71]
	v_fmac_f64_e32 v[64:65], v[72:73], v[70:71]
	v_mul_f64_e32 v[70:71], v[20:21], v[74:75]
	s_delay_alu instid0(VALU_DEP_1) | instskip(SKIP_4) | instid1(VALU_DEP_1)
	v_mul_f64_e32 v[76:77], v[28:29], v[70:71]
	ds_load_2addr_b64 v[70:73], v69 offset0:2 offset1:3
	s_wait_dscnt 0x0
	v_fmac_f64_e32 v[64:65], v[70:71], v[76:77]
	v_mul_f64_e32 v[70:71], v[22:23], v[74:75]
	v_mul_f64_e32 v[70:71], v[36:37], v[70:71]
	s_delay_alu instid0(VALU_DEP_1) | instskip(SKIP_1) | instid1(VALU_DEP_1)
	v_fmac_f64_e32 v[64:65], v[72:73], v[70:71]
	v_mul_f64_e32 v[70:71], v[56:57], v[74:75]
	v_mul_f64_e32 v[74:75], v[44:45], v[70:71]
	ds_load_2addr_b64 v[70:73], v69 offset0:4 offset1:5
	s_wait_dscnt 0x0
	v_fmac_f64_e32 v[64:65], v[74:75], v[70:71]
	v_mul_f64_e32 v[70:71], v[26:27], v[66:67]
	s_delay_alu instid0(VALU_DEP_1) | instskip(NEXT) | instid1(VALU_DEP_1)
	v_mul_f64_e32 v[74:75], v[18:19], v[70:71]
	v_mul_f64_e32 v[70:71], v[0:1], v[74:75]
	s_delay_alu instid0(VALU_DEP_1) | instskip(NEXT) | instid1(VALU_DEP_1)
	v_mul_f64_e32 v[70:71], v[4:5], v[70:71]
	v_fmac_f64_e32 v[64:65], v[70:71], v[72:73]
	v_mul_f64_e32 v[70:71], v[2:3], v[74:75]
	s_delay_alu instid0(VALU_DEP_1) | instskip(SKIP_4) | instid1(VALU_DEP_1)
	v_mul_f64_e32 v[76:77], v[12:13], v[70:71]
	ds_load_2addr_b64 v[70:73], v69 offset0:6 offset1:7
	s_wait_dscnt 0x0
	v_fmac_f64_e32 v[64:65], v[76:77], v[70:71]
	v_mul_f64_e32 v[70:71], v[20:21], v[74:75]
	v_mul_f64_e32 v[70:71], v[28:29], v[70:71]
	s_delay_alu instid0(VALU_DEP_1) | instskip(SKIP_1) | instid1(VALU_DEP_1)
	v_fmac_f64_e32 v[64:65], v[70:71], v[72:73]
	v_mul_f64_e32 v[70:71], v[22:23], v[74:75]
	v_mul_f64_e32 v[76:77], v[36:37], v[70:71]
	ds_load_2addr_b64 v[70:73], v69 offset0:8 offset1:9
	s_wait_dscnt 0x0
	v_fmac_f64_e32 v[64:65], v[76:77], v[70:71]
	v_mul_f64_e32 v[70:71], v[56:57], v[74:75]
	s_delay_alu instid0(VALU_DEP_1) | instskip(NEXT) | instid1(VALU_DEP_1)
	v_mul_f64_e32 v[70:71], v[44:45], v[70:71]
	v_fmac_f64_e32 v[64:65], v[70:71], v[72:73]
	v_mul_f64_e32 v[70:71], v[52:53], v[66:67]
	s_delay_alu instid0(VALU_DEP_1) | instskip(NEXT) | instid1(VALU_DEP_1)
	v_mul_f64_e32 v[74:75], v[34:35], v[70:71]
	v_mul_f64_e32 v[70:71], v[0:1], v[74:75]
	s_delay_alu instid0(VALU_DEP_1) | instskip(SKIP_4) | instid1(VALU_DEP_1)
	v_mul_f64_e32 v[76:77], v[4:5], v[70:71]
	ds_load_2addr_b64 v[70:73], v69 offset0:10 offset1:11
	s_wait_dscnt 0x0
	v_fmac_f64_e32 v[64:65], v[76:77], v[70:71]
	v_mul_f64_e32 v[70:71], v[2:3], v[74:75]
	v_mul_f64_e32 v[70:71], v[12:13], v[70:71]
	s_delay_alu instid0(VALU_DEP_1) | instskip(SKIP_1) | instid1(VALU_DEP_1)
	v_fmac_f64_e32 v[64:65], v[70:71], v[72:73]
	v_mul_f64_e32 v[70:71], v[20:21], v[74:75]
	v_mul_f64_e32 v[76:77], v[28:29], v[70:71]
	ds_load_2addr_b64 v[70:73], v69 offset0:12 offset1:13
	s_wait_dscnt 0x0
	v_fmac_f64_e32 v[64:65], v[76:77], v[70:71]
	v_mul_f64_e32 v[70:71], v[22:23], v[74:75]
	s_delay_alu instid0(VALU_DEP_1) | instskip(NEXT) | instid1(VALU_DEP_1)
	v_mul_f64_e32 v[70:71], v[36:37], v[70:71]
	v_fmac_f64_e32 v[64:65], v[70:71], v[72:73]
	v_mul_f64_e32 v[70:71], v[56:57], v[74:75]
	s_delay_alu instid0(VALU_DEP_1)
	v_mul_f64_e32 v[74:75], v[44:45], v[70:71]
	ds_load_2addr_b64 v[70:73], v69 offset0:14 offset1:15
	s_wait_dscnt 0x0
	v_fmac_f64_e32 v[64:65], v[74:75], v[70:71]
	v_mul_f64_e32 v[70:71], v[54:55], v[66:67]
	v_mul_f64_e32 v[66:67], v[58:59], v[66:67]
	s_delay_alu instid0(VALU_DEP_2) | instskip(NEXT) | instid1(VALU_DEP_2)
	v_mul_f64_e32 v[74:75], v[42:43], v[70:71]
	v_mul_f64_e32 v[66:67], v[50:51], v[66:67]
	s_delay_alu instid0(VALU_DEP_2) | instskip(NEXT) | instid1(VALU_DEP_1)
	v_mul_f64_e32 v[70:71], v[0:1], v[74:75]
	v_mul_f64_e32 v[70:71], v[4:5], v[70:71]
	s_delay_alu instid0(VALU_DEP_1) | instskip(SKIP_1) | instid1(VALU_DEP_1)
	v_fmac_f64_e32 v[64:65], v[70:71], v[72:73]
	v_mul_f64_e32 v[70:71], v[2:3], v[74:75]
	v_mul_f64_e32 v[76:77], v[12:13], v[70:71]
	ds_load_2addr_b64 v[70:73], v69 offset0:16 offset1:17
	s_wait_dscnt 0x0
	v_fmac_f64_e32 v[64:65], v[76:77], v[70:71]
	v_mul_f64_e32 v[70:71], v[20:21], v[74:75]
	s_delay_alu instid0(VALU_DEP_1) | instskip(NEXT) | instid1(VALU_DEP_1)
	v_mul_f64_e32 v[70:71], v[28:29], v[70:71]
	v_fmac_f64_e32 v[64:65], v[70:71], v[72:73]
	v_mul_f64_e32 v[70:71], v[22:23], v[74:75]
	s_delay_alu instid0(VALU_DEP_1) | instskip(SKIP_4) | instid1(VALU_DEP_1)
	v_mul_f64_e32 v[76:77], v[36:37], v[70:71]
	ds_load_2addr_b64 v[70:73], v69 offset0:18 offset1:19
	s_wait_dscnt 0x0
	v_fmac_f64_e32 v[64:65], v[76:77], v[70:71]
	v_mul_f64_e32 v[70:71], v[56:57], v[74:75]
	v_mul_f64_e32 v[70:71], v[44:45], v[70:71]
	s_delay_alu instid0(VALU_DEP_1) | instskip(SKIP_1) | instid1(VALU_DEP_1)
	v_fmac_f64_e32 v[64:65], v[70:71], v[72:73]
	v_mul_f64_e32 v[70:71], v[0:1], v[66:67]
	v_mul_f64_e32 v[74:75], v[4:5], v[70:71]
	ds_load_2addr_b64 v[70:73], v69 offset0:20 offset1:21
	s_wait_dscnt 0x0
	v_fmac_f64_e32 v[64:65], v[74:75], v[70:71]
	v_mul_f64_e32 v[70:71], v[2:3], v[66:67]
	s_delay_alu instid0(VALU_DEP_1) | instskip(NEXT) | instid1(VALU_DEP_1)
	v_mul_f64_e32 v[70:71], v[12:13], v[70:71]
	v_fmac_f64_e32 v[64:65], v[70:71], v[72:73]
	v_mul_f64_e32 v[70:71], v[20:21], v[66:67]
	s_delay_alu instid0(VALU_DEP_1)
	v_mul_f64_e32 v[74:75], v[28:29], v[70:71]
	ds_load_2addr_b64 v[70:73], v69 offset0:22 offset1:23
	s_wait_dscnt 0x0
	v_fmac_f64_e32 v[64:65], v[74:75], v[70:71]
	v_mul_f64_e32 v[70:71], v[22:23], v[66:67]
	v_mul_f64_e32 v[66:67], v[56:57], v[66:67]
	s_delay_alu instid0(VALU_DEP_2) | instskip(NEXT) | instid1(VALU_DEP_2)
	v_mul_f64_e32 v[70:71], v[36:37], v[70:71]
	v_mul_f64_e32 v[66:67], v[44:45], v[66:67]
	s_delay_alu instid0(VALU_DEP_2)
	v_fmac_f64_e32 v[64:65], v[70:71], v[72:73]
	ds_load_b64 v[70:71], v69 offset:192
	s_wait_dscnt 0x0
	v_fmac_f64_e32 v[64:65], v[66:67], v[70:71]
	s_cbranch_scc1 .LBB1_49
; %bb.50:                               ;   in Loop: Header=BB1_24 Depth=1
	v_mov_b64_e32 v[66:67], 0
	s_mov_b64 s[2:3], 5
	s_mov_b32 s5, 0
	s_mov_b32 s6, 0
	global_store_b64 v[62:63], v[64:65], off offset:6144
.LBB1_51:                               ;   Parent Loop BB1_24 Depth=1
                                        ; =>  This Inner Loop Header: Depth=2
	s_add_co_i32 s7, s4, s5
	s_wait_xcnt 0x0
	v_dual_mov_b32 v69, s7 :: v_dual_add_nc_u32 v64, s5, v68
	s_add_nc_u64 s[2:3], s[2:3], -1
	s_add_co_i32 s5, s5, 32
	ds_load_b64 v[64:65], v64
	ds_load_b64 v[70:71], v69
	v_mov_b32_e32 v69, s6
	s_addk_co_i32 s6, 0xc8
	s_cmp_lg_u64 s[2:3], 0
	s_wait_dscnt 0x0
	v_mul_f64_e32 v[64:65], v[64:65], v[70:71]
	s_delay_alu instid0(VALU_DEP_1) | instskip(NEXT) | instid1(VALU_DEP_1)
	v_mul_f64_e32 v[70:71], v[24:25], v[64:65]
	v_mul_f64_e32 v[74:75], v[10:11], v[70:71]
	s_delay_alu instid0(VALU_DEP_1) | instskip(NEXT) | instid1(VALU_DEP_1)
	v_mul_f64_e32 v[70:71], v[0:1], v[74:75]
	v_mul_f64_e32 v[76:77], v[6:7], v[70:71]
	ds_load_2addr_b64 v[70:73], v69 offset1:1
	s_wait_dscnt 0x0
	v_fmac_f64_e32 v[66:67], v[70:71], v[76:77]
	v_mul_f64_e32 v[70:71], v[2:3], v[74:75]
	s_delay_alu instid0(VALU_DEP_1) | instskip(NEXT) | instid1(VALU_DEP_1)
	v_mul_f64_e32 v[70:71], v[14:15], v[70:71]
	v_fmac_f64_e32 v[66:67], v[72:73], v[70:71]
	v_mul_f64_e32 v[70:71], v[20:21], v[74:75]
	s_delay_alu instid0(VALU_DEP_1) | instskip(SKIP_4) | instid1(VALU_DEP_1)
	v_mul_f64_e32 v[76:77], v[30:31], v[70:71]
	ds_load_2addr_b64 v[70:73], v69 offset0:2 offset1:3
	s_wait_dscnt 0x0
	v_fmac_f64_e32 v[66:67], v[70:71], v[76:77]
	v_mul_f64_e32 v[70:71], v[22:23], v[74:75]
	v_mul_f64_e32 v[70:71], v[38:39], v[70:71]
	s_delay_alu instid0(VALU_DEP_1) | instskip(SKIP_1) | instid1(VALU_DEP_1)
	v_fmac_f64_e32 v[66:67], v[72:73], v[70:71]
	v_mul_f64_e32 v[70:71], v[56:57], v[74:75]
	v_mul_f64_e32 v[74:75], v[46:47], v[70:71]
	ds_load_2addr_b64 v[70:73], v69 offset0:4 offset1:5
	s_wait_dscnt 0x0
	v_fmac_f64_e32 v[66:67], v[74:75], v[70:71]
	v_mul_f64_e32 v[70:71], v[26:27], v[64:65]
	s_delay_alu instid0(VALU_DEP_1) | instskip(NEXT) | instid1(VALU_DEP_1)
	v_mul_f64_e32 v[74:75], v[18:19], v[70:71]
	v_mul_f64_e32 v[70:71], v[0:1], v[74:75]
	s_delay_alu instid0(VALU_DEP_1) | instskip(NEXT) | instid1(VALU_DEP_1)
	v_mul_f64_e32 v[70:71], v[6:7], v[70:71]
	v_fmac_f64_e32 v[66:67], v[70:71], v[72:73]
	v_mul_f64_e32 v[70:71], v[2:3], v[74:75]
	s_delay_alu instid0(VALU_DEP_1) | instskip(SKIP_4) | instid1(VALU_DEP_1)
	v_mul_f64_e32 v[76:77], v[14:15], v[70:71]
	ds_load_2addr_b64 v[70:73], v69 offset0:6 offset1:7
	s_wait_dscnt 0x0
	v_fmac_f64_e32 v[66:67], v[76:77], v[70:71]
	v_mul_f64_e32 v[70:71], v[20:21], v[74:75]
	v_mul_f64_e32 v[70:71], v[30:31], v[70:71]
	s_delay_alu instid0(VALU_DEP_1) | instskip(SKIP_1) | instid1(VALU_DEP_1)
	v_fmac_f64_e32 v[66:67], v[70:71], v[72:73]
	v_mul_f64_e32 v[70:71], v[22:23], v[74:75]
	v_mul_f64_e32 v[76:77], v[38:39], v[70:71]
	ds_load_2addr_b64 v[70:73], v69 offset0:8 offset1:9
	s_wait_dscnt 0x0
	v_fmac_f64_e32 v[66:67], v[76:77], v[70:71]
	v_mul_f64_e32 v[70:71], v[56:57], v[74:75]
	s_delay_alu instid0(VALU_DEP_1) | instskip(NEXT) | instid1(VALU_DEP_1)
	v_mul_f64_e32 v[70:71], v[46:47], v[70:71]
	v_fmac_f64_e32 v[66:67], v[70:71], v[72:73]
	v_mul_f64_e32 v[70:71], v[52:53], v[64:65]
	s_delay_alu instid0(VALU_DEP_1) | instskip(NEXT) | instid1(VALU_DEP_1)
	v_mul_f64_e32 v[74:75], v[34:35], v[70:71]
	v_mul_f64_e32 v[70:71], v[0:1], v[74:75]
	s_delay_alu instid0(VALU_DEP_1) | instskip(SKIP_4) | instid1(VALU_DEP_1)
	v_mul_f64_e32 v[76:77], v[6:7], v[70:71]
	ds_load_2addr_b64 v[70:73], v69 offset0:10 offset1:11
	s_wait_dscnt 0x0
	v_fmac_f64_e32 v[66:67], v[76:77], v[70:71]
	v_mul_f64_e32 v[70:71], v[2:3], v[74:75]
	v_mul_f64_e32 v[70:71], v[14:15], v[70:71]
	s_delay_alu instid0(VALU_DEP_1) | instskip(SKIP_1) | instid1(VALU_DEP_1)
	v_fmac_f64_e32 v[66:67], v[70:71], v[72:73]
	v_mul_f64_e32 v[70:71], v[20:21], v[74:75]
	v_mul_f64_e32 v[76:77], v[30:31], v[70:71]
	ds_load_2addr_b64 v[70:73], v69 offset0:12 offset1:13
	s_wait_dscnt 0x0
	v_fmac_f64_e32 v[66:67], v[76:77], v[70:71]
	v_mul_f64_e32 v[70:71], v[22:23], v[74:75]
	s_delay_alu instid0(VALU_DEP_1) | instskip(NEXT) | instid1(VALU_DEP_1)
	v_mul_f64_e32 v[70:71], v[38:39], v[70:71]
	v_fmac_f64_e32 v[66:67], v[70:71], v[72:73]
	v_mul_f64_e32 v[70:71], v[56:57], v[74:75]
	s_delay_alu instid0(VALU_DEP_1)
	v_mul_f64_e32 v[74:75], v[46:47], v[70:71]
	ds_load_2addr_b64 v[70:73], v69 offset0:14 offset1:15
	s_wait_dscnt 0x0
	v_fmac_f64_e32 v[66:67], v[74:75], v[70:71]
	v_mul_f64_e32 v[70:71], v[54:55], v[64:65]
	v_mul_f64_e32 v[64:65], v[58:59], v[64:65]
	s_delay_alu instid0(VALU_DEP_2) | instskip(NEXT) | instid1(VALU_DEP_2)
	v_mul_f64_e32 v[74:75], v[42:43], v[70:71]
	v_mul_f64_e32 v[64:65], v[50:51], v[64:65]
	s_delay_alu instid0(VALU_DEP_2) | instskip(NEXT) | instid1(VALU_DEP_1)
	v_mul_f64_e32 v[70:71], v[0:1], v[74:75]
	v_mul_f64_e32 v[70:71], v[6:7], v[70:71]
	s_delay_alu instid0(VALU_DEP_1) | instskip(SKIP_1) | instid1(VALU_DEP_1)
	v_fmac_f64_e32 v[66:67], v[70:71], v[72:73]
	v_mul_f64_e32 v[70:71], v[2:3], v[74:75]
	v_mul_f64_e32 v[76:77], v[14:15], v[70:71]
	ds_load_2addr_b64 v[70:73], v69 offset0:16 offset1:17
	s_wait_dscnt 0x0
	v_fmac_f64_e32 v[66:67], v[76:77], v[70:71]
	v_mul_f64_e32 v[70:71], v[20:21], v[74:75]
	s_delay_alu instid0(VALU_DEP_1) | instskip(NEXT) | instid1(VALU_DEP_1)
	v_mul_f64_e32 v[70:71], v[30:31], v[70:71]
	v_fmac_f64_e32 v[66:67], v[70:71], v[72:73]
	v_mul_f64_e32 v[70:71], v[22:23], v[74:75]
	s_delay_alu instid0(VALU_DEP_1) | instskip(SKIP_4) | instid1(VALU_DEP_1)
	v_mul_f64_e32 v[76:77], v[38:39], v[70:71]
	ds_load_2addr_b64 v[70:73], v69 offset0:18 offset1:19
	s_wait_dscnt 0x0
	v_fmac_f64_e32 v[66:67], v[76:77], v[70:71]
	v_mul_f64_e32 v[70:71], v[56:57], v[74:75]
	v_mul_f64_e32 v[70:71], v[46:47], v[70:71]
	s_delay_alu instid0(VALU_DEP_1) | instskip(SKIP_1) | instid1(VALU_DEP_1)
	v_fmac_f64_e32 v[66:67], v[70:71], v[72:73]
	v_mul_f64_e32 v[70:71], v[0:1], v[64:65]
	v_mul_f64_e32 v[74:75], v[6:7], v[70:71]
	ds_load_2addr_b64 v[70:73], v69 offset0:20 offset1:21
	s_wait_dscnt 0x0
	v_fmac_f64_e32 v[66:67], v[74:75], v[70:71]
	v_mul_f64_e32 v[70:71], v[2:3], v[64:65]
	s_delay_alu instid0(VALU_DEP_1) | instskip(NEXT) | instid1(VALU_DEP_1)
	v_mul_f64_e32 v[70:71], v[14:15], v[70:71]
	v_fmac_f64_e32 v[66:67], v[70:71], v[72:73]
	v_mul_f64_e32 v[70:71], v[20:21], v[64:65]
	s_delay_alu instid0(VALU_DEP_1)
	v_mul_f64_e32 v[74:75], v[30:31], v[70:71]
	ds_load_2addr_b64 v[70:73], v69 offset0:22 offset1:23
	s_wait_dscnt 0x0
	v_fmac_f64_e32 v[66:67], v[74:75], v[70:71]
	v_mul_f64_e32 v[70:71], v[22:23], v[64:65]
	v_mul_f64_e32 v[64:65], v[56:57], v[64:65]
	s_delay_alu instid0(VALU_DEP_2) | instskip(NEXT) | instid1(VALU_DEP_2)
	v_mul_f64_e32 v[70:71], v[38:39], v[70:71]
	v_mul_f64_e32 v[64:65], v[46:47], v[64:65]
	s_delay_alu instid0(VALU_DEP_2)
	v_fmac_f64_e32 v[66:67], v[70:71], v[72:73]
	ds_load_b64 v[70:71], v69 offset:192
	s_wait_dscnt 0x0
	v_fmac_f64_e32 v[66:67], v[64:65], v[70:71]
	s_cbranch_scc1 .LBB1_51
; %bb.52:                               ;   in Loop: Header=BB1_24 Depth=1
	v_mov_b64_e32 v[64:65], 0
	s_mov_b64 s[2:3], 5
	s_mov_b32 s5, 0
	s_mov_b32 s6, 0
	global_store_b64 v[62:63], v[66:67], off offset:14336
.LBB1_53:                               ;   Parent Loop BB1_24 Depth=1
                                        ; =>  This Inner Loop Header: Depth=2
	s_add_co_i32 s7, s4, s5
	s_wait_xcnt 0x0
	v_dual_mov_b32 v69, s7 :: v_dual_add_nc_u32 v66, s5, v68
	s_add_nc_u64 s[2:3], s[2:3], -1
	s_add_co_i32 s5, s5, 32
	ds_load_b64 v[66:67], v66
	ds_load_b64 v[70:71], v69
	v_mov_b32_e32 v69, s6
	s_addk_co_i32 s6, 0xc8
	s_cmp_lg_u64 s[2:3], 0
	s_wait_dscnt 0x0
	v_mul_f64_e32 v[66:67], v[66:67], v[70:71]
	s_delay_alu instid0(VALU_DEP_1) | instskip(NEXT) | instid1(VALU_DEP_1)
	v_mul_f64_e32 v[70:71], v[24:25], v[66:67]
	v_mul_f64_e32 v[74:75], v[10:11], v[70:71]
	s_delay_alu instid0(VALU_DEP_1) | instskip(NEXT) | instid1(VALU_DEP_1)
	v_mul_f64_e32 v[70:71], v[0:1], v[74:75]
	v_mul_f64_e32 v[76:77], v[8:9], v[70:71]
	ds_load_2addr_b64 v[70:73], v69 offset1:1
	s_wait_dscnt 0x0
	v_fmac_f64_e32 v[64:65], v[70:71], v[76:77]
	v_mul_f64_e32 v[70:71], v[2:3], v[74:75]
	s_delay_alu instid0(VALU_DEP_1) | instskip(NEXT) | instid1(VALU_DEP_1)
	v_mul_f64_e32 v[70:71], v[16:17], v[70:71]
	v_fmac_f64_e32 v[64:65], v[72:73], v[70:71]
	v_mul_f64_e32 v[70:71], v[20:21], v[74:75]
	s_delay_alu instid0(VALU_DEP_1) | instskip(SKIP_4) | instid1(VALU_DEP_1)
	v_mul_f64_e32 v[76:77], v[32:33], v[70:71]
	ds_load_2addr_b64 v[70:73], v69 offset0:2 offset1:3
	s_wait_dscnt 0x0
	v_fmac_f64_e32 v[64:65], v[70:71], v[76:77]
	v_mul_f64_e32 v[70:71], v[22:23], v[74:75]
	v_mul_f64_e32 v[70:71], v[40:41], v[70:71]
	s_delay_alu instid0(VALU_DEP_1) | instskip(SKIP_1) | instid1(VALU_DEP_1)
	v_fmac_f64_e32 v[64:65], v[72:73], v[70:71]
	v_mul_f64_e32 v[70:71], v[56:57], v[74:75]
	v_mul_f64_e32 v[74:75], v[48:49], v[70:71]
	ds_load_2addr_b64 v[70:73], v69 offset0:4 offset1:5
	s_wait_dscnt 0x0
	v_fmac_f64_e32 v[64:65], v[74:75], v[70:71]
	v_mul_f64_e32 v[70:71], v[26:27], v[66:67]
	s_delay_alu instid0(VALU_DEP_1) | instskip(NEXT) | instid1(VALU_DEP_1)
	v_mul_f64_e32 v[74:75], v[18:19], v[70:71]
	v_mul_f64_e32 v[70:71], v[0:1], v[74:75]
	s_delay_alu instid0(VALU_DEP_1) | instskip(NEXT) | instid1(VALU_DEP_1)
	v_mul_f64_e32 v[70:71], v[8:9], v[70:71]
	v_fmac_f64_e32 v[64:65], v[70:71], v[72:73]
	v_mul_f64_e32 v[70:71], v[2:3], v[74:75]
	s_delay_alu instid0(VALU_DEP_1) | instskip(SKIP_4) | instid1(VALU_DEP_1)
	v_mul_f64_e32 v[76:77], v[16:17], v[70:71]
	ds_load_2addr_b64 v[70:73], v69 offset0:6 offset1:7
	s_wait_dscnt 0x0
	v_fmac_f64_e32 v[64:65], v[76:77], v[70:71]
	v_mul_f64_e32 v[70:71], v[20:21], v[74:75]
	v_mul_f64_e32 v[70:71], v[32:33], v[70:71]
	s_delay_alu instid0(VALU_DEP_1) | instskip(SKIP_1) | instid1(VALU_DEP_1)
	v_fmac_f64_e32 v[64:65], v[70:71], v[72:73]
	v_mul_f64_e32 v[70:71], v[22:23], v[74:75]
	v_mul_f64_e32 v[76:77], v[40:41], v[70:71]
	ds_load_2addr_b64 v[70:73], v69 offset0:8 offset1:9
	s_wait_dscnt 0x0
	v_fmac_f64_e32 v[64:65], v[76:77], v[70:71]
	v_mul_f64_e32 v[70:71], v[56:57], v[74:75]
	s_delay_alu instid0(VALU_DEP_1) | instskip(NEXT) | instid1(VALU_DEP_1)
	v_mul_f64_e32 v[70:71], v[48:49], v[70:71]
	v_fmac_f64_e32 v[64:65], v[70:71], v[72:73]
	v_mul_f64_e32 v[70:71], v[52:53], v[66:67]
	s_delay_alu instid0(VALU_DEP_1) | instskip(NEXT) | instid1(VALU_DEP_1)
	v_mul_f64_e32 v[74:75], v[34:35], v[70:71]
	v_mul_f64_e32 v[70:71], v[0:1], v[74:75]
	s_delay_alu instid0(VALU_DEP_1) | instskip(SKIP_4) | instid1(VALU_DEP_1)
	v_mul_f64_e32 v[76:77], v[8:9], v[70:71]
	ds_load_2addr_b64 v[70:73], v69 offset0:10 offset1:11
	s_wait_dscnt 0x0
	v_fmac_f64_e32 v[64:65], v[76:77], v[70:71]
	v_mul_f64_e32 v[70:71], v[2:3], v[74:75]
	v_mul_f64_e32 v[70:71], v[16:17], v[70:71]
	s_delay_alu instid0(VALU_DEP_1) | instskip(SKIP_1) | instid1(VALU_DEP_1)
	v_fmac_f64_e32 v[64:65], v[70:71], v[72:73]
	v_mul_f64_e32 v[70:71], v[20:21], v[74:75]
	v_mul_f64_e32 v[76:77], v[32:33], v[70:71]
	ds_load_2addr_b64 v[70:73], v69 offset0:12 offset1:13
	s_wait_dscnt 0x0
	v_fmac_f64_e32 v[64:65], v[76:77], v[70:71]
	v_mul_f64_e32 v[70:71], v[22:23], v[74:75]
	s_delay_alu instid0(VALU_DEP_1) | instskip(NEXT) | instid1(VALU_DEP_1)
	v_mul_f64_e32 v[70:71], v[40:41], v[70:71]
	v_fmac_f64_e32 v[64:65], v[70:71], v[72:73]
	v_mul_f64_e32 v[70:71], v[56:57], v[74:75]
	s_delay_alu instid0(VALU_DEP_1)
	v_mul_f64_e32 v[74:75], v[48:49], v[70:71]
	ds_load_2addr_b64 v[70:73], v69 offset0:14 offset1:15
	s_wait_dscnt 0x0
	v_fmac_f64_e32 v[64:65], v[74:75], v[70:71]
	v_mul_f64_e32 v[70:71], v[54:55], v[66:67]
	v_mul_f64_e32 v[66:67], v[58:59], v[66:67]
	s_delay_alu instid0(VALU_DEP_2) | instskip(NEXT) | instid1(VALU_DEP_2)
	v_mul_f64_e32 v[74:75], v[42:43], v[70:71]
	v_mul_f64_e32 v[66:67], v[50:51], v[66:67]
	s_delay_alu instid0(VALU_DEP_2) | instskip(NEXT) | instid1(VALU_DEP_1)
	v_mul_f64_e32 v[70:71], v[0:1], v[74:75]
	v_mul_f64_e32 v[70:71], v[8:9], v[70:71]
	s_delay_alu instid0(VALU_DEP_1) | instskip(SKIP_1) | instid1(VALU_DEP_1)
	v_fmac_f64_e32 v[64:65], v[70:71], v[72:73]
	v_mul_f64_e32 v[70:71], v[2:3], v[74:75]
	v_mul_f64_e32 v[76:77], v[16:17], v[70:71]
	ds_load_2addr_b64 v[70:73], v69 offset0:16 offset1:17
	s_wait_dscnt 0x0
	v_fmac_f64_e32 v[64:65], v[76:77], v[70:71]
	v_mul_f64_e32 v[70:71], v[20:21], v[74:75]
	s_delay_alu instid0(VALU_DEP_1) | instskip(NEXT) | instid1(VALU_DEP_1)
	v_mul_f64_e32 v[70:71], v[32:33], v[70:71]
	v_fmac_f64_e32 v[64:65], v[70:71], v[72:73]
	v_mul_f64_e32 v[70:71], v[22:23], v[74:75]
	s_delay_alu instid0(VALU_DEP_1) | instskip(SKIP_4) | instid1(VALU_DEP_1)
	v_mul_f64_e32 v[76:77], v[40:41], v[70:71]
	ds_load_2addr_b64 v[70:73], v69 offset0:18 offset1:19
	s_wait_dscnt 0x0
	v_fmac_f64_e32 v[64:65], v[76:77], v[70:71]
	v_mul_f64_e32 v[70:71], v[56:57], v[74:75]
	v_mul_f64_e32 v[70:71], v[48:49], v[70:71]
	s_delay_alu instid0(VALU_DEP_1) | instskip(SKIP_1) | instid1(VALU_DEP_1)
	v_fmac_f64_e32 v[64:65], v[70:71], v[72:73]
	v_mul_f64_e32 v[70:71], v[0:1], v[66:67]
	v_mul_f64_e32 v[74:75], v[8:9], v[70:71]
	ds_load_2addr_b64 v[70:73], v69 offset0:20 offset1:21
	s_wait_dscnt 0x0
	v_fmac_f64_e32 v[64:65], v[74:75], v[70:71]
	v_mul_f64_e32 v[70:71], v[2:3], v[66:67]
	s_delay_alu instid0(VALU_DEP_1) | instskip(NEXT) | instid1(VALU_DEP_1)
	v_mul_f64_e32 v[70:71], v[16:17], v[70:71]
	v_fmac_f64_e32 v[64:65], v[70:71], v[72:73]
	v_mul_f64_e32 v[70:71], v[20:21], v[66:67]
	s_delay_alu instid0(VALU_DEP_1)
	v_mul_f64_e32 v[74:75], v[32:33], v[70:71]
	ds_load_2addr_b64 v[70:73], v69 offset0:22 offset1:23
	s_wait_dscnt 0x0
	v_fmac_f64_e32 v[64:65], v[74:75], v[70:71]
	v_mul_f64_e32 v[70:71], v[22:23], v[66:67]
	v_mul_f64_e32 v[66:67], v[56:57], v[66:67]
	s_delay_alu instid0(VALU_DEP_2) | instskip(NEXT) | instid1(VALU_DEP_2)
	v_mul_f64_e32 v[70:71], v[40:41], v[70:71]
	v_mul_f64_e32 v[66:67], v[48:49], v[66:67]
	s_delay_alu instid0(VALU_DEP_2)
	v_fmac_f64_e32 v[64:65], v[70:71], v[72:73]
	ds_load_b64 v[70:71], v69 offset:192
	s_wait_dscnt 0x0
	v_fmac_f64_e32 v[64:65], v[66:67], v[70:71]
	s_cbranch_scc1 .LBB1_53
; %bb.54:                               ;   in Loop: Header=BB1_24 Depth=1
	v_mov_b64_e32 v[66:67], 0
	s_mov_b64 s[2:3], 5
	s_mov_b32 s5, 0
	s_mov_b32 s6, 0
	global_store_b64 v[62:63], v[64:65], off offset:22528
.LBB1_55:                               ;   Parent Loop BB1_24 Depth=1
                                        ; =>  This Inner Loop Header: Depth=2
	s_add_co_i32 s7, s4, s5
	s_wait_xcnt 0x0
	v_dual_mov_b32 v69, s7 :: v_dual_add_nc_u32 v64, s5, v68
	s_add_nc_u64 s[2:3], s[2:3], -1
	s_add_co_i32 s5, s5, 32
	ds_load_b64 v[64:65], v64
	ds_load_b64 v[70:71], v69
	v_mov_b32_e32 v69, s6
	s_addk_co_i32 s6, 0xc8
	s_cmp_lg_u64 s[2:3], 0
	s_wait_dscnt 0x0
	v_mul_f64_e32 v[64:65], v[64:65], v[70:71]
	s_delay_alu instid0(VALU_DEP_1) | instskip(NEXT) | instid1(VALU_DEP_1)
	v_mul_f64_e32 v[70:71], v[24:25], v[64:65]
	v_mul_f64_e32 v[74:75], v[10:11], v[70:71]
	s_delay_alu instid0(VALU_DEP_1) | instskip(NEXT) | instid1(VALU_DEP_1)
	v_mul_f64_e32 v[70:71], v[0:1], v[74:75]
	v_mul_f64_e32 v[76:77], v[10:11], v[70:71]
	ds_load_2addr_b64 v[70:73], v69 offset1:1
	s_wait_dscnt 0x0
	v_fmac_f64_e32 v[66:67], v[70:71], v[76:77]
	v_mul_f64_e32 v[70:71], v[2:3], v[74:75]
	s_delay_alu instid0(VALU_DEP_1) | instskip(NEXT) | instid1(VALU_DEP_1)
	v_mul_f64_e32 v[70:71], v[18:19], v[70:71]
	v_fmac_f64_e32 v[66:67], v[72:73], v[70:71]
	v_mul_f64_e32 v[70:71], v[20:21], v[74:75]
	s_delay_alu instid0(VALU_DEP_1) | instskip(SKIP_4) | instid1(VALU_DEP_1)
	v_mul_f64_e32 v[76:77], v[34:35], v[70:71]
	ds_load_2addr_b64 v[70:73], v69 offset0:2 offset1:3
	s_wait_dscnt 0x0
	v_fmac_f64_e32 v[66:67], v[70:71], v[76:77]
	v_mul_f64_e32 v[70:71], v[22:23], v[74:75]
	v_mul_f64_e32 v[70:71], v[42:43], v[70:71]
	s_delay_alu instid0(VALU_DEP_1) | instskip(SKIP_1) | instid1(VALU_DEP_1)
	v_fmac_f64_e32 v[66:67], v[72:73], v[70:71]
	v_mul_f64_e32 v[70:71], v[56:57], v[74:75]
	v_mul_f64_e32 v[74:75], v[50:51], v[70:71]
	ds_load_2addr_b64 v[70:73], v69 offset0:4 offset1:5
	s_wait_dscnt 0x0
	v_fmac_f64_e32 v[66:67], v[74:75], v[70:71]
	v_mul_f64_e32 v[70:71], v[26:27], v[64:65]
	s_delay_alu instid0(VALU_DEP_1) | instskip(NEXT) | instid1(VALU_DEP_1)
	v_mul_f64_e32 v[74:75], v[18:19], v[70:71]
	v_mul_f64_e32 v[70:71], v[0:1], v[74:75]
	s_delay_alu instid0(VALU_DEP_1) | instskip(NEXT) | instid1(VALU_DEP_1)
	v_mul_f64_e32 v[70:71], v[10:11], v[70:71]
	v_fmac_f64_e32 v[66:67], v[70:71], v[72:73]
	v_mul_f64_e32 v[70:71], v[2:3], v[74:75]
	s_delay_alu instid0(VALU_DEP_1) | instskip(SKIP_4) | instid1(VALU_DEP_1)
	v_mul_f64_e32 v[76:77], v[18:19], v[70:71]
	ds_load_2addr_b64 v[70:73], v69 offset0:6 offset1:7
	s_wait_dscnt 0x0
	v_fmac_f64_e32 v[66:67], v[76:77], v[70:71]
	v_mul_f64_e32 v[70:71], v[20:21], v[74:75]
	v_mul_f64_e32 v[70:71], v[34:35], v[70:71]
	s_delay_alu instid0(VALU_DEP_1) | instskip(SKIP_1) | instid1(VALU_DEP_1)
	v_fmac_f64_e32 v[66:67], v[70:71], v[72:73]
	v_mul_f64_e32 v[70:71], v[22:23], v[74:75]
	v_mul_f64_e32 v[76:77], v[42:43], v[70:71]
	ds_load_2addr_b64 v[70:73], v69 offset0:8 offset1:9
	s_wait_dscnt 0x0
	v_fmac_f64_e32 v[66:67], v[76:77], v[70:71]
	v_mul_f64_e32 v[70:71], v[56:57], v[74:75]
	s_delay_alu instid0(VALU_DEP_1) | instskip(NEXT) | instid1(VALU_DEP_1)
	v_mul_f64_e32 v[70:71], v[50:51], v[70:71]
	v_fmac_f64_e32 v[66:67], v[70:71], v[72:73]
	v_mul_f64_e32 v[70:71], v[52:53], v[64:65]
	s_delay_alu instid0(VALU_DEP_1) | instskip(NEXT) | instid1(VALU_DEP_1)
	v_mul_f64_e32 v[74:75], v[34:35], v[70:71]
	v_mul_f64_e32 v[70:71], v[0:1], v[74:75]
	s_delay_alu instid0(VALU_DEP_1) | instskip(SKIP_4) | instid1(VALU_DEP_1)
	v_mul_f64_e32 v[76:77], v[10:11], v[70:71]
	ds_load_2addr_b64 v[70:73], v69 offset0:10 offset1:11
	s_wait_dscnt 0x0
	v_fmac_f64_e32 v[66:67], v[76:77], v[70:71]
	v_mul_f64_e32 v[70:71], v[2:3], v[74:75]
	v_mul_f64_e32 v[70:71], v[18:19], v[70:71]
	s_delay_alu instid0(VALU_DEP_1) | instskip(SKIP_1) | instid1(VALU_DEP_1)
	v_fmac_f64_e32 v[66:67], v[70:71], v[72:73]
	v_mul_f64_e32 v[70:71], v[20:21], v[74:75]
	v_mul_f64_e32 v[76:77], v[34:35], v[70:71]
	ds_load_2addr_b64 v[70:73], v69 offset0:12 offset1:13
	s_wait_dscnt 0x0
	v_fmac_f64_e32 v[66:67], v[76:77], v[70:71]
	v_mul_f64_e32 v[70:71], v[22:23], v[74:75]
	s_delay_alu instid0(VALU_DEP_1) | instskip(NEXT) | instid1(VALU_DEP_1)
	v_mul_f64_e32 v[70:71], v[42:43], v[70:71]
	v_fmac_f64_e32 v[66:67], v[70:71], v[72:73]
	v_mul_f64_e32 v[70:71], v[56:57], v[74:75]
	s_delay_alu instid0(VALU_DEP_1)
	v_mul_f64_e32 v[74:75], v[50:51], v[70:71]
	ds_load_2addr_b64 v[70:73], v69 offset0:14 offset1:15
	s_wait_dscnt 0x0
	v_fmac_f64_e32 v[66:67], v[74:75], v[70:71]
	v_mul_f64_e32 v[70:71], v[54:55], v[64:65]
	v_mul_f64_e32 v[64:65], v[58:59], v[64:65]
	s_delay_alu instid0(VALU_DEP_2) | instskip(NEXT) | instid1(VALU_DEP_2)
	v_mul_f64_e32 v[74:75], v[42:43], v[70:71]
	v_mul_f64_e32 v[64:65], v[50:51], v[64:65]
	s_delay_alu instid0(VALU_DEP_2) | instskip(NEXT) | instid1(VALU_DEP_1)
	v_mul_f64_e32 v[70:71], v[0:1], v[74:75]
	v_mul_f64_e32 v[70:71], v[10:11], v[70:71]
	s_delay_alu instid0(VALU_DEP_1) | instskip(SKIP_1) | instid1(VALU_DEP_1)
	v_fmac_f64_e32 v[66:67], v[70:71], v[72:73]
	v_mul_f64_e32 v[70:71], v[2:3], v[74:75]
	v_mul_f64_e32 v[76:77], v[18:19], v[70:71]
	ds_load_2addr_b64 v[70:73], v69 offset0:16 offset1:17
	s_wait_dscnt 0x0
	v_fmac_f64_e32 v[66:67], v[76:77], v[70:71]
	v_mul_f64_e32 v[70:71], v[20:21], v[74:75]
	s_delay_alu instid0(VALU_DEP_1) | instskip(NEXT) | instid1(VALU_DEP_1)
	v_mul_f64_e32 v[70:71], v[34:35], v[70:71]
	v_fmac_f64_e32 v[66:67], v[70:71], v[72:73]
	v_mul_f64_e32 v[70:71], v[22:23], v[74:75]
	s_delay_alu instid0(VALU_DEP_1) | instskip(SKIP_4) | instid1(VALU_DEP_1)
	v_mul_f64_e32 v[76:77], v[42:43], v[70:71]
	ds_load_2addr_b64 v[70:73], v69 offset0:18 offset1:19
	s_wait_dscnt 0x0
	v_fmac_f64_e32 v[66:67], v[76:77], v[70:71]
	v_mul_f64_e32 v[70:71], v[56:57], v[74:75]
	v_mul_f64_e32 v[70:71], v[50:51], v[70:71]
	s_delay_alu instid0(VALU_DEP_1) | instskip(SKIP_1) | instid1(VALU_DEP_1)
	v_fmac_f64_e32 v[66:67], v[70:71], v[72:73]
	v_mul_f64_e32 v[70:71], v[0:1], v[64:65]
	v_mul_f64_e32 v[74:75], v[10:11], v[70:71]
	ds_load_2addr_b64 v[70:73], v69 offset0:20 offset1:21
	s_wait_dscnt 0x0
	v_fmac_f64_e32 v[66:67], v[74:75], v[70:71]
	v_mul_f64_e32 v[70:71], v[2:3], v[64:65]
	s_delay_alu instid0(VALU_DEP_1) | instskip(NEXT) | instid1(VALU_DEP_1)
	v_mul_f64_e32 v[70:71], v[18:19], v[70:71]
	v_fmac_f64_e32 v[66:67], v[70:71], v[72:73]
	v_mul_f64_e32 v[70:71], v[20:21], v[64:65]
	s_delay_alu instid0(VALU_DEP_1)
	v_mul_f64_e32 v[74:75], v[34:35], v[70:71]
	ds_load_2addr_b64 v[70:73], v69 offset0:22 offset1:23
	s_wait_dscnt 0x0
	v_fmac_f64_e32 v[66:67], v[74:75], v[70:71]
	v_mul_f64_e32 v[70:71], v[22:23], v[64:65]
	v_mul_f64_e32 v[64:65], v[56:57], v[64:65]
	s_delay_alu instid0(VALU_DEP_2) | instskip(NEXT) | instid1(VALU_DEP_2)
	v_mul_f64_e32 v[70:71], v[42:43], v[70:71]
	v_mul_f64_e32 v[64:65], v[50:51], v[64:65]
	s_delay_alu instid0(VALU_DEP_2)
	v_fmac_f64_e32 v[66:67], v[70:71], v[72:73]
	ds_load_b64 v[70:71], v69 offset:192
	s_wait_dscnt 0x0
	v_fmac_f64_e32 v[66:67], v[64:65], v[70:71]
	s_cbranch_scc1 .LBB1_55
; %bb.56:                               ;   in Loop: Header=BB1_24 Depth=1
	s_add_nc_u64 s[0:1], s[0:1], 1
	s_add_co_i32 s4, s4, 8
	s_cmp_eq_u64 s[0:1], 4
	global_store_b64 v[62:63], v[66:67], off offset:30720
	s_cbranch_scc0 .LBB1_24
.LBB1_57:
	s_sendmsg sendmsg(MSG_DEALLOC_VGPRS)
	s_endpgm
	.section	.rodata,"a",@progbits
	.p2align	6, 0x0
	.amdhsa_kernel _ZN4RAJA34launch_new_reduce_global_fcn_fixedIZN8rajaperf4apps8MASS3DEA17runHipVariantImplILm64ELm0EEEvNS1_9VariantIDEEUlNS_14LaunchContextTINS_3hip33LaunchContextIndicesAndDimsPolicyINS7_14IndicesAndDimsILb0ELb0ELb0ELb0EEEEEEEE_Li64ENS_4expt15ForallParamPackIJEEEEEvT_T1_
		.amdhsa_group_segment_fixed_size 1168
		.amdhsa_private_segment_fixed_size 0
		.amdhsa_kernarg_size 36
		.amdhsa_user_sgpr_count 2
		.amdhsa_user_sgpr_dispatch_ptr 0
		.amdhsa_user_sgpr_queue_ptr 0
		.amdhsa_user_sgpr_kernarg_segment_ptr 1
		.amdhsa_user_sgpr_dispatch_id 0
		.amdhsa_user_sgpr_kernarg_preload_length 0
		.amdhsa_user_sgpr_kernarg_preload_offset 0
		.amdhsa_user_sgpr_private_segment_size 0
		.amdhsa_wavefront_size32 1
		.amdhsa_uses_dynamic_stack 0
		.amdhsa_enable_private_segment 0
		.amdhsa_system_sgpr_workgroup_id_x 1
		.amdhsa_system_sgpr_workgroup_id_y 0
		.amdhsa_system_sgpr_workgroup_id_z 0
		.amdhsa_system_sgpr_workgroup_info 0
		.amdhsa_system_vgpr_workitem_id 2
		.amdhsa_next_free_vgpr 78
		.amdhsa_next_free_sgpr 14
		.amdhsa_named_barrier_count 0
		.amdhsa_reserve_vcc 1
		.amdhsa_float_round_mode_32 0
		.amdhsa_float_round_mode_16_64 0
		.amdhsa_float_denorm_mode_32 3
		.amdhsa_float_denorm_mode_16_64 3
		.amdhsa_fp16_overflow 0
		.amdhsa_memory_ordered 1
		.amdhsa_forward_progress 1
		.amdhsa_inst_pref_size 95
		.amdhsa_round_robin_scheduling 0
		.amdhsa_exception_fp_ieee_invalid_op 0
		.amdhsa_exception_fp_denorm_src 0
		.amdhsa_exception_fp_ieee_div_zero 0
		.amdhsa_exception_fp_ieee_overflow 0
		.amdhsa_exception_fp_ieee_underflow 0
		.amdhsa_exception_fp_ieee_inexact 0
		.amdhsa_exception_int_div_zero 0
	.end_amdhsa_kernel
	.section	.text._ZN4RAJA34launch_new_reduce_global_fcn_fixedIZN8rajaperf4apps8MASS3DEA17runHipVariantImplILm64ELm0EEEvNS1_9VariantIDEEUlNS_14LaunchContextTINS_3hip33LaunchContextIndicesAndDimsPolicyINS7_14IndicesAndDimsILb0ELb0ELb0ELb0EEEEEEEE_Li64ENS_4expt15ForallParamPackIJEEEEEvT_T1_,"axG",@progbits,_ZN4RAJA34launch_new_reduce_global_fcn_fixedIZN8rajaperf4apps8MASS3DEA17runHipVariantImplILm64ELm0EEEvNS1_9VariantIDEEUlNS_14LaunchContextTINS_3hip33LaunchContextIndicesAndDimsPolicyINS7_14IndicesAndDimsILb0ELb0ELb0ELb0EEEEEEEE_Li64ENS_4expt15ForallParamPackIJEEEEEvT_T1_,comdat
.Lfunc_end1:
	.size	_ZN4RAJA34launch_new_reduce_global_fcn_fixedIZN8rajaperf4apps8MASS3DEA17runHipVariantImplILm64ELm0EEEvNS1_9VariantIDEEUlNS_14LaunchContextTINS_3hip33LaunchContextIndicesAndDimsPolicyINS7_14IndicesAndDimsILb0ELb0ELb0ELb0EEEEEEEE_Li64ENS_4expt15ForallParamPackIJEEEEEvT_T1_, .Lfunc_end1-_ZN4RAJA34launch_new_reduce_global_fcn_fixedIZN8rajaperf4apps8MASS3DEA17runHipVariantImplILm64ELm0EEEvNS1_9VariantIDEEUlNS_14LaunchContextTINS_3hip33LaunchContextIndicesAndDimsPolicyINS7_14IndicesAndDimsILb0ELb0ELb0ELb0EEEEEEEE_Li64ENS_4expt15ForallParamPackIJEEEEEvT_T1_
                                        ; -- End function
	.set _ZN4RAJA34launch_new_reduce_global_fcn_fixedIZN8rajaperf4apps8MASS3DEA17runHipVariantImplILm64ELm0EEEvNS1_9VariantIDEEUlNS_14LaunchContextTINS_3hip33LaunchContextIndicesAndDimsPolicyINS7_14IndicesAndDimsILb0ELb0ELb0ELb0EEEEEEEE_Li64ENS_4expt15ForallParamPackIJEEEEEvT_T1_.num_vgpr, 78
	.set _ZN4RAJA34launch_new_reduce_global_fcn_fixedIZN8rajaperf4apps8MASS3DEA17runHipVariantImplILm64ELm0EEEvNS1_9VariantIDEEUlNS_14LaunchContextTINS_3hip33LaunchContextIndicesAndDimsPolicyINS7_14IndicesAndDimsILb0ELb0ELb0ELb0EEEEEEEE_Li64ENS_4expt15ForallParamPackIJEEEEEvT_T1_.num_agpr, 0
	.set _ZN4RAJA34launch_new_reduce_global_fcn_fixedIZN8rajaperf4apps8MASS3DEA17runHipVariantImplILm64ELm0EEEvNS1_9VariantIDEEUlNS_14LaunchContextTINS_3hip33LaunchContextIndicesAndDimsPolicyINS7_14IndicesAndDimsILb0ELb0ELb0ELb0EEEEEEEE_Li64ENS_4expt15ForallParamPackIJEEEEEvT_T1_.numbered_sgpr, 14
	.set _ZN4RAJA34launch_new_reduce_global_fcn_fixedIZN8rajaperf4apps8MASS3DEA17runHipVariantImplILm64ELm0EEEvNS1_9VariantIDEEUlNS_14LaunchContextTINS_3hip33LaunchContextIndicesAndDimsPolicyINS7_14IndicesAndDimsILb0ELb0ELb0ELb0EEEEEEEE_Li64ENS_4expt15ForallParamPackIJEEEEEvT_T1_.num_named_barrier, 0
	.set _ZN4RAJA34launch_new_reduce_global_fcn_fixedIZN8rajaperf4apps8MASS3DEA17runHipVariantImplILm64ELm0EEEvNS1_9VariantIDEEUlNS_14LaunchContextTINS_3hip33LaunchContextIndicesAndDimsPolicyINS7_14IndicesAndDimsILb0ELb0ELb0ELb0EEEEEEEE_Li64ENS_4expt15ForallParamPackIJEEEEEvT_T1_.private_seg_size, 0
	.set _ZN4RAJA34launch_new_reduce_global_fcn_fixedIZN8rajaperf4apps8MASS3DEA17runHipVariantImplILm64ELm0EEEvNS1_9VariantIDEEUlNS_14LaunchContextTINS_3hip33LaunchContextIndicesAndDimsPolicyINS7_14IndicesAndDimsILb0ELb0ELb0ELb0EEEEEEEE_Li64ENS_4expt15ForallParamPackIJEEEEEvT_T1_.uses_vcc, 1
	.set _ZN4RAJA34launch_new_reduce_global_fcn_fixedIZN8rajaperf4apps8MASS3DEA17runHipVariantImplILm64ELm0EEEvNS1_9VariantIDEEUlNS_14LaunchContextTINS_3hip33LaunchContextIndicesAndDimsPolicyINS7_14IndicesAndDimsILb0ELb0ELb0ELb0EEEEEEEE_Li64ENS_4expt15ForallParamPackIJEEEEEvT_T1_.uses_flat_scratch, 0
	.set _ZN4RAJA34launch_new_reduce_global_fcn_fixedIZN8rajaperf4apps8MASS3DEA17runHipVariantImplILm64ELm0EEEvNS1_9VariantIDEEUlNS_14LaunchContextTINS_3hip33LaunchContextIndicesAndDimsPolicyINS7_14IndicesAndDimsILb0ELb0ELb0ELb0EEEEEEEE_Li64ENS_4expt15ForallParamPackIJEEEEEvT_T1_.has_dyn_sized_stack, 0
	.set _ZN4RAJA34launch_new_reduce_global_fcn_fixedIZN8rajaperf4apps8MASS3DEA17runHipVariantImplILm64ELm0EEEvNS1_9VariantIDEEUlNS_14LaunchContextTINS_3hip33LaunchContextIndicesAndDimsPolicyINS7_14IndicesAndDimsILb0ELb0ELb0ELb0EEEEEEEE_Li64ENS_4expt15ForallParamPackIJEEEEEvT_T1_.has_recursion, 0
	.set _ZN4RAJA34launch_new_reduce_global_fcn_fixedIZN8rajaperf4apps8MASS3DEA17runHipVariantImplILm64ELm0EEEvNS1_9VariantIDEEUlNS_14LaunchContextTINS_3hip33LaunchContextIndicesAndDimsPolicyINS7_14IndicesAndDimsILb0ELb0ELb0ELb0EEEEEEEE_Li64ENS_4expt15ForallParamPackIJEEEEEvT_T1_.has_indirect_call, 0
	.section	.AMDGPU.csdata,"",@progbits
; Kernel info:
; codeLenInByte = 12100
; TotalNumSgprs: 16
; NumVgprs: 78
; ScratchSize: 0
; MemoryBound: 0
; FloatMode: 240
; IeeeMode: 1
; LDSByteSize: 1168 bytes/workgroup (compile time only)
; SGPRBlocks: 0
; VGPRBlocks: 4
; NumSGPRsForWavesPerEU: 16
; NumVGPRsForWavesPerEU: 78
; NamedBarCnt: 0
; Occupancy: 12
; WaveLimiterHint : 0
; COMPUTE_PGM_RSRC2:SCRATCH_EN: 0
; COMPUTE_PGM_RSRC2:USER_SGPR: 2
; COMPUTE_PGM_RSRC2:TRAP_HANDLER: 0
; COMPUTE_PGM_RSRC2:TGID_X_EN: 1
; COMPUTE_PGM_RSRC2:TGID_Y_EN: 0
; COMPUTE_PGM_RSRC2:TGID_Z_EN: 0
; COMPUTE_PGM_RSRC2:TIDIG_COMP_CNT: 2
	.section	.text._ZN4RAJA34launch_new_reduce_global_fcn_fixedIZN8rajaperf4apps8MASS3DEA17runHipVariantImplILm64ELm1EEEvNS1_9VariantIDEEUlNS_14LaunchContextTINS_3hip33LaunchContextIndicesAndDimsPolicyINS7_14IndicesAndDimsILb0ELb0ELb1ELb0EEEEEEEE_Li64ENS_4expt15ForallParamPackIJEEEEEvT_T1_,"axG",@progbits,_ZN4RAJA34launch_new_reduce_global_fcn_fixedIZN8rajaperf4apps8MASS3DEA17runHipVariantImplILm64ELm1EEEvNS1_9VariantIDEEUlNS_14LaunchContextTINS_3hip33LaunchContextIndicesAndDimsPolicyINS7_14IndicesAndDimsILb0ELb0ELb1ELb0EEEEEEEE_Li64ENS_4expt15ForallParamPackIJEEEEEvT_T1_,comdat
	.protected	_ZN4RAJA34launch_new_reduce_global_fcn_fixedIZN8rajaperf4apps8MASS3DEA17runHipVariantImplILm64ELm1EEEvNS1_9VariantIDEEUlNS_14LaunchContextTINS_3hip33LaunchContextIndicesAndDimsPolicyINS7_14IndicesAndDimsILb0ELb0ELb1ELb0EEEEEEEE_Li64ENS_4expt15ForallParamPackIJEEEEEvT_T1_ ; -- Begin function _ZN4RAJA34launch_new_reduce_global_fcn_fixedIZN8rajaperf4apps8MASS3DEA17runHipVariantImplILm64ELm1EEEvNS1_9VariantIDEEUlNS_14LaunchContextTINS_3hip33LaunchContextIndicesAndDimsPolicyINS7_14IndicesAndDimsILb0ELb0ELb1ELb0EEEEEEEE_Li64ENS_4expt15ForallParamPackIJEEEEEvT_T1_
	.globl	_ZN4RAJA34launch_new_reduce_global_fcn_fixedIZN8rajaperf4apps8MASS3DEA17runHipVariantImplILm64ELm1EEEvNS1_9VariantIDEEUlNS_14LaunchContextTINS_3hip33LaunchContextIndicesAndDimsPolicyINS7_14IndicesAndDimsILb0ELb0ELb1ELb0EEEEEEEE_Li64ENS_4expt15ForallParamPackIJEEEEEvT_T1_
	.p2align	8
	.type	_ZN4RAJA34launch_new_reduce_global_fcn_fixedIZN8rajaperf4apps8MASS3DEA17runHipVariantImplILm64ELm1EEEvNS1_9VariantIDEEUlNS_14LaunchContextTINS_3hip33LaunchContextIndicesAndDimsPolicyINS7_14IndicesAndDimsILb0ELb0ELb1ELb0EEEEEEEE_Li64ENS_4expt15ForallParamPackIJEEEEEvT_T1_,@function
_ZN4RAJA34launch_new_reduce_global_fcn_fixedIZN8rajaperf4apps8MASS3DEA17runHipVariantImplILm64ELm1EEEvNS1_9VariantIDEEUlNS_14LaunchContextTINS_3hip33LaunchContextIndicesAndDimsPolicyINS7_14IndicesAndDimsILb0ELb0ELb1ELb0EEEEEEEE_Li64ENS_4expt15ForallParamPackIJEEEEEvT_T1_: ; @_ZN4RAJA34launch_new_reduce_global_fcn_fixedIZN8rajaperf4apps8MASS3DEA17runHipVariantImplILm64ELm1EEEvNS1_9VariantIDEEUlNS_14LaunchContextTINS_3hip33LaunchContextIndicesAndDimsPolicyINS7_14IndicesAndDimsILb0ELb0ELb1ELb0EEEEEEEE_Li64ENS_4expt15ForallParamPackIJEEEEEvT_T1_
; %bb.0:
	s_load_b256 s[4:11], s[0:1], 0x0
	s_bfe_u32 s2, ttmp6, 0x4000c
	s_and_b32 s3, ttmp6, 15
	s_add_co_i32 s2, s2, 1
	s_getreg_b32 s12, hwreg(HW_REG_IB_STS2, 6, 4)
	s_mul_i32 s2, ttmp9, s2
	s_mov_b32 s15, 0
	s_add_co_i32 s3, s3, s2
	s_cmp_eq_u32 s12, 0
	s_cselect_b32 s14, ttmp9, s3
	s_wait_kmcnt 0x0
	v_cmp_le_i64_e64 s2, s[4:5], s[14:15]
	s_and_b32 vcc_lo, exec_lo, s2
	s_cbranch_vccnz .LBB2_39
; %bb.1:
	s_load_b64 s[12:13], s[0:1], 0x34
	v_bfe_u32 v32, v0, 20, 10
	v_and_b32_e32 v34, 0x3ff, v0
	s_wait_xcnt 0x0
	s_mov_b32 s0, exec_lo
                                        ; implicit-def: $vgpr2_vgpr3
	s_wait_kmcnt 0x0
	s_and_b32 s2, s12, 0xffff
	v_cmpx_ne_u32_e32 0, v32
	s_xor_b32 s0, exec_lo, s0
; %bb.2:
	s_mov_b32 s3, 0
	v_mov_b32_e32 v35, 0
	v_mov_b64_e32 v[2:3], s[2:3]
; %bb.3:
	s_or_saveexec_b32 s5, s0
	v_bfe_u32 v36, v0, 10, 10
	s_and_b32 s4, s13, 0xffff
	s_lshr_b32 s12, s12, 16
	s_xor_b32 exec_lo, exec_lo, s5
	s_cbranch_execz .LBB2_13
; %bb.4:
	v_dual_mov_b32 v35, 0 :: v_dual_lshlrev_b32 v0, 3, v36
	v_lshlrev_b32_e32 v3, 3, v34
	v_cmp_gt_u32_e64 s0, 4, v34
	v_cmp_gt_u32_e64 s1, 5, v36
	s_delay_alu instid0(VALU_DEP_4) | instskip(SKIP_3) | instid1(VALU_DEP_2)
	v_dual_mov_b32 v1, v35 :: v_dual_lshlrev_b32 v2, 5, v36
	v_mov_b32_e32 v37, v35
	s_mov_b32 s3, 0
	s_cmp_lg_u32 s4, 0
	v_mad_nc_u64_u32 v[0:1], v34, 40, v[0:1]
	v_add3_u32 v10, v2, v3, 0x3f0
	s_cselect_b32 s18, -1, 0
	s_mov_b32 s13, s3
	s_mul_u64 s[16:17], s[2:3], 40
	s_lshl_b32 s19, s2, 3
	s_lshl_b32 s20, s12, 5
	s_delay_alu instid0(VALU_DEP_2)
	v_add_nc_u64_e32 v[0:1], s[6:7], v[0:1]
	s_lshl_b32 s6, s12, 3
	s_mov_b32 s7, s3
	s_branch .LBB2_6
.LBB2_5:                                ;   in Loop: Header=BB2_6 Depth=1
	s_or_b32 exec_lo, exec_lo, s21
	s_delay_alu instid0(SALU_CYCLE_1)
	s_and_not1_b32 vcc_lo, exec_lo, s18
	s_cbranch_vccz .LBB2_12
.LBB2_6:                                ; =>This Loop Header: Depth=1
                                        ;     Child Loop BB2_9 Depth 2
                                        ;       Child Loop BB2_11 Depth 3
	s_and_saveexec_b32 s21, s0
	s_cbranch_execz .LBB2_5
; %bb.7:                                ;   in Loop: Header=BB2_6 Depth=1
	s_delay_alu instid0(VALU_DEP_1)
	v_mov_b64_e32 v[2:3], v[0:1]
	v_mov_b64_e32 v[4:5], v[34:35]
	v_mov_b32_e32 v11, v10
	s_mov_b32 s22, 0
	s_branch .LBB2_9
.LBB2_8:                                ;   in Loop: Header=BB2_9 Depth=2
	s_or_b32 exec_lo, exec_lo, s23
	v_add_nc_u64_e32 v[4:5], s[2:3], v[4:5]
	v_add_nc_u64_e32 v[2:3], s[16:17], v[2:3]
	v_add_nc_u32_e32 v11, s19, v11
	s_delay_alu instid0(VALU_DEP_3) | instskip(SKIP_1) | instid1(SALU_CYCLE_1)
	v_cmp_lt_u64_e32 vcc_lo, 3, v[4:5]
	s_or_b32 s22, vcc_lo, s22
	s_and_not1_b32 exec_lo, exec_lo, s22
	s_cbranch_execz .LBB2_5
.LBB2_9:                                ;   Parent Loop BB2_6 Depth=1
                                        ; =>  This Loop Header: Depth=2
                                        ;       Child Loop BB2_11 Depth 3
	s_and_saveexec_b32 s23, s1
	s_cbranch_execz .LBB2_8
; %bb.10:                               ;   in Loop: Header=BB2_9 Depth=2
	v_mov_b64_e32 v[6:7], v[2:3]
	v_mov_b64_e32 v[8:9], v[36:37]
	v_mov_b32_e32 v12, v11
	s_mov_b32 s24, 0
.LBB2_11:                               ;   Parent Loop BB2_6 Depth=1
                                        ;     Parent Loop BB2_9 Depth=2
                                        ; =>    This Inner Loop Header: Depth=3
	global_load_b64 v[14:15], v[6:7], off
	v_add_nc_u64_e32 v[8:9], s[12:13], v[8:9]
	s_wait_xcnt 0x0
	v_add_nc_u64_e32 v[6:7], s[6:7], v[6:7]
	s_delay_alu instid0(VALU_DEP_2)
	v_cmp_lt_u64_e32 vcc_lo, 4, v[8:9]
	s_or_b32 s24, vcc_lo, s24
	s_wait_loadcnt 0x0
	ds_store_b64 v12, v[14:15]
	v_add_nc_u32_e32 v12, s20, v12
	s_and_not1_b32 exec_lo, exec_lo, s24
	s_cbranch_execnz .LBB2_11
	s_branch .LBB2_8
.LBB2_12:
	v_mov_b64_e32 v[2:3], s[2:3]
.LBB2_13:
	s_or_b32 exec_lo, exec_lo, s5
	v_mov_b32_e32 v33, 0
	s_mov_b32 s5, 0
	s_mov_b32 s3, exec_lo
	v_cmpx_gt_u32_e32 5, v34
	s_cbranch_execz .LBB2_22
; %bb.14:
	v_mul_hi_u32_u24_e32 v1, 0xc8, v32
	v_mul_u32_u24_e32 v0, 0xc8, v32
	v_mul_lo_u32 v4, 0xc8, v34
	v_dual_mov_b32 v37, v33 :: v_dual_lshlrev_b32 v6, 3, v32
	v_mul_u32_u24_e32 v5, 40, v36
	s_delay_alu instid0(VALU_DEP_4)
	v_mad_nc_u64_u32 v[0:1], 0x3e8, s14, v[0:1]
	v_mul_lo_u32 v16, 0xc8, v2
	v_cmp_gt_u32_e64 s0, 5, v32
	s_mov_b32 s13, s5
	s_mul_i32 s16, s12, 40
	s_lshl_b32 s17, s4, 3
	s_mul_u64 s[6:7], s[12:13], 40
	v_add3_u32 v17, v4, v5, v6
	v_lshlrev_b64_e32 v[4:5], 3, v[2:3]
	v_mov_b64_e32 v[6:7], v[34:35]
	s_mov_b32 s18, s5
	v_mad_nc_u64_u32 v[0:1], v36, 40, v[0:1]
	v_cmp_gt_u32_e32 vcc_lo, 5, v36
	s_delay_alu instid0(VALU_DEP_2) | instskip(NEXT) | instid1(VALU_DEP_1)
	v_lshl_add_u64 v[0:1], v[34:35], 3, v[0:1]
	v_add_nc_u64_e32 v[0:1], s[8:9], v[0:1]
	s_mul_u64 s[8:9], s[4:5], 0xc8
	s_branch .LBB2_16
.LBB2_15:                               ;   in Loop: Header=BB2_16 Depth=1
	s_or_b32 exec_lo, exec_lo, s19
	v_add_nc_u64_e32 v[6:7], v[6:7], v[2:3]
	v_add_nc_u64_e32 v[0:1], v[0:1], v[4:5]
	v_add_nc_u32_e32 v17, v17, v16
	s_delay_alu instid0(VALU_DEP_3) | instskip(SKIP_1) | instid1(SALU_CYCLE_1)
	v_cmp_lt_u64_e64 s1, 4, v[6:7]
	s_or_b32 s18, s1, s18
	s_and_not1_b32 exec_lo, exec_lo, s18
	s_cbranch_execz .LBB2_22
.LBB2_16:                               ; =>This Loop Header: Depth=1
                                        ;     Child Loop BB2_19 Depth 2
                                        ;       Child Loop BB2_21 Depth 3
	s_and_saveexec_b32 s19, vcc_lo
	s_cbranch_execz .LBB2_15
; %bb.17:                               ;   in Loop: Header=BB2_16 Depth=1
	s_delay_alu instid0(VALU_DEP_1)
	v_mov_b64_e32 v[8:9], v[0:1]
	v_mov_b64_e32 v[10:11], v[36:37]
	v_mov_b32_e32 v18, v17
	s_mov_b32 s20, 0
	s_branch .LBB2_19
.LBB2_18:                               ;   in Loop: Header=BB2_19 Depth=2
	s_or_b32 exec_lo, exec_lo, s21
	v_add_nc_u64_e32 v[10:11], s[12:13], v[10:11]
	v_add_nc_u64_e32 v[8:9], s[6:7], v[8:9]
	v_add_nc_u32_e32 v18, s16, v18
	s_delay_alu instid0(VALU_DEP_3) | instskip(SKIP_1) | instid1(SALU_CYCLE_1)
	v_cmp_lt_u64_e64 s1, 4, v[10:11]
	s_or_b32 s20, s1, s20
	s_and_not1_b32 exec_lo, exec_lo, s20
	s_cbranch_execz .LBB2_15
.LBB2_19:                               ;   Parent Loop BB2_16 Depth=1
                                        ; =>  This Loop Header: Depth=2
                                        ;       Child Loop BB2_21 Depth 3
	s_and_saveexec_b32 s21, s0
	s_cbranch_execz .LBB2_18
; %bb.20:                               ;   in Loop: Header=BB2_19 Depth=2
	v_mov_b64_e32 v[12:13], v[8:9]
	v_mov_b64_e32 v[14:15], v[32:33]
	v_mov_b32_e32 v19, v18
	s_mov_b32 s22, 0
.LBB2_21:                               ;   Parent Loop BB2_16 Depth=1
                                        ;     Parent Loop BB2_19 Depth=2
                                        ; =>    This Inner Loop Header: Depth=3
	global_load_b64 v[20:21], v[12:13], off
	v_add_nc_u64_e32 v[14:15], s[4:5], v[14:15]
	s_wait_xcnt 0x0
	v_add_nc_u64_e32 v[12:13], s[8:9], v[12:13]
	s_delay_alu instid0(VALU_DEP_2)
	v_cmp_lt_u64_e64 s1, 4, v[14:15]
	s_or_b32 s22, s1, s22
	s_wait_loadcnt 0x0
	ds_store_b64 v19, v[20:21]
	v_add_nc_u32_e32 v19, s17, v19
	s_and_not1_b32 exec_lo, exec_lo, s22
	s_cbranch_execnz .LBB2_21
	s_branch .LBB2_18
.LBB2_22:
	s_or_b32 exec_lo, exec_lo, s3
	s_wait_dscnt 0x0
	s_barrier_signal -1
	s_barrier_wait -1
	s_mov_b32 s0, exec_lo
	v_cmpx_gt_u32_e32 4, v34
	s_cbranch_execz .LBB2_39
; %bb.23:
	v_mov_b32_e32 v37, 0
	v_cmp_gt_u32_e64 s0, 4, v32
	v_lshl_add_u32 v62, v34, 3, 0x3f0
	s_mov_b32 s3, 0
	s_lshl_b64 s[6:7], s[14:15], 15
	s_mov_b32 s13, s3
	s_add_nc_u64 s[6:7], s[10:11], s[6:7]
	s_lshl_b32 s18, s2, 3
	s_mov_b32 s19, s3
	v_cmp_gt_u32_e32 vcc_lo, 4, v36
	s_branch .LBB2_25
.LBB2_24:                               ;   in Loop: Header=BB2_25 Depth=1
	s_or_b32 exec_lo, exec_lo, s20
	v_add_nc_u64_e32 v[34:35], s[2:3], v[34:35]
	v_add_nc_u32_e32 v62, s18, v62
	s_delay_alu instid0(VALU_DEP_2) | instskip(SKIP_1) | instid1(SALU_CYCLE_1)
	v_cmp_lt_u64_e64 s1, 3, v[34:35]
	s_or_b32 s19, s1, s19
	s_and_not1_b32 exec_lo, exec_lo, s19
	s_cbranch_execz .LBB2_39
.LBB2_25:                               ; =>This Loop Header: Depth=1
                                        ;     Child Loop BB2_28 Depth 2
                                        ;       Child Loop BB2_30 Depth 3
                                        ;         Child Loop BB2_31 Depth 4
                                        ;           Child Loop BB2_32 Depth 5
                                        ;             Child Loop BB2_33 Depth 6
                                        ;               Child Loop BB2_34 Depth 7
	s_and_saveexec_b32 s20, vcc_lo
	s_cbranch_execz .LBB2_24
; %bb.26:                               ;   in Loop: Header=BB2_25 Depth=1
	v_mov_b64_e32 v[40:41], v[36:37]
	v_lshl_add_u64 v[38:39], v[34:35], 3, s[6:7]
	s_mov_b32 s21, 0
	s_branch .LBB2_28
.LBB2_27:                               ;   in Loop: Header=BB2_28 Depth=2
	s_or_b32 exec_lo, exec_lo, s22
	v_add_nc_u64_e32 v[40:41], s[12:13], v[40:41]
	s_delay_alu instid0(VALU_DEP_1) | instskip(SKIP_1) | instid1(SALU_CYCLE_1)
	v_cmp_lt_u64_e64 s1, 3, v[40:41]
	s_or_b32 s21, s1, s21
	s_and_not1_b32 exec_lo, exec_lo, s21
	s_cbranch_execz .LBB2_24
.LBB2_28:                               ;   Parent Loop BB2_25 Depth=1
                                        ; =>  This Loop Header: Depth=2
                                        ;       Child Loop BB2_30 Depth 3
                                        ;         Child Loop BB2_31 Depth 4
                                        ;           Child Loop BB2_32 Depth 5
                                        ;             Child Loop BB2_33 Depth 6
                                        ;               Child Loop BB2_34 Depth 7
	s_and_saveexec_b32 s22, s0
	s_cbranch_execz .LBB2_27
; %bb.29:                               ;   in Loop: Header=BB2_28 Depth=2
	s_delay_alu instid0(VALU_DEP_2)
	v_lshlrev_b32_e32 v8, 3, v40
	v_mov_b64_e32 v[46:47], v[32:33]
	s_mov_b32 s23, 0
	ds_load_2addr_b64 v[0:3], v8 offset0:126 offset1:130
	ds_load_2addr_b64 v[4:7], v8 offset0:134 offset1:138
	ds_load_b64 v[42:43], v8 offset:1136
	v_lshlrev_b64_e32 v[8:9], 5, v[40:41]
	s_delay_alu instid0(VALU_DEP_1)
	v_add_nc_u64_e32 v[44:45], v[38:39], v[8:9]
.LBB2_30:                               ;   Parent Loop BB2_25 Depth=1
                                        ;     Parent Loop BB2_28 Depth=2
                                        ; =>    This Loop Header: Depth=3
                                        ;         Child Loop BB2_31 Depth 4
                                        ;           Child Loop BB2_32 Depth 5
                                        ;             Child Loop BB2_33 Depth 6
                                        ;               Child Loop BB2_34 Depth 7
	v_lshlrev_b32_e32 v16, 3, v46
	s_mov_b64 s[8:9], 0
	s_movk_i32 s1, 0x3f0
	ds_load_2addr_b64 v[8:11], v16 offset0:126 offset1:130
	ds_load_2addr_b64 v[12:15], v16 offset0:134 offset1:138
	ds_load_b64 v[48:49], v16 offset:1136
	v_lshlrev_b64_e32 v[16:17], 7, v[46:47]
	s_delay_alu instid0(VALU_DEP_1)
	v_add_nc_u64_e32 v[50:51], v[44:45], v[16:17]
.LBB2_31:                               ;   Parent Loop BB2_25 Depth=1
                                        ;     Parent Loop BB2_28 Depth=2
                                        ;       Parent Loop BB2_30 Depth=3
                                        ; =>      This Loop Header: Depth=4
                                        ;           Child Loop BB2_32 Depth 5
                                        ;             Child Loop BB2_33 Depth 6
                                        ;               Child Loop BB2_34 Depth 7
	s_lshl_b64 s[10:11], s[8:9], 9
	s_delay_alu instid0(VALU_DEP_1) | instid1(SALU_CYCLE_1)
	v_add_nc_u64_e32 v[52:53], s[10:11], v[50:51]
	s_mov_b64 s[10:11], 0
.LBB2_32:                               ;   Parent Loop BB2_25 Depth=1
                                        ;     Parent Loop BB2_28 Depth=2
                                        ;       Parent Loop BB2_30 Depth=3
                                        ;         Parent Loop BB2_31 Depth=4
                                        ; =>        This Loop Header: Depth=5
                                        ;             Child Loop BB2_33 Depth 6
                                        ;               Child Loop BB2_34 Depth 7
	s_delay_alu instid0(SALU_CYCLE_1)
	s_lshl_b32 s14, s10, 3
	s_wait_xcnt 0x0
	v_mov_b32_e32 v24, s14
	s_lshl_b64 s[14:15], s[10:11], 11
	ds_load_2addr_b64 v[16:19], v24 offset0:126 offset1:130
	ds_load_2addr_b64 v[20:23], v24 offset0:134 offset1:138
	ds_load_b64 v[54:55], v24 offset:1136
	v_add_nc_u64_e32 v[56:57], s[14:15], v[52:53]
	s_mov_b64 s[14:15], 0
.LBB2_33:                               ;   Parent Loop BB2_25 Depth=1
                                        ;     Parent Loop BB2_28 Depth=2
                                        ;       Parent Loop BB2_30 Depth=3
                                        ;         Parent Loop BB2_31 Depth=4
                                        ;           Parent Loop BB2_32 Depth=5
                                        ; =>          This Loop Header: Depth=6
                                        ;               Child Loop BB2_34 Depth 7
	s_delay_alu instid0(SALU_CYCLE_1)
	s_lshl_b32 s16, s14, 3
	s_mov_b32 s24, 0
	s_wait_xcnt 0x0
	v_dual_mov_b32 v58, s16 :: v_dual_mov_b32 v63, v62
	s_mov_b64 s[16:17], 5
	s_mov_b32 s25, s1
	ds_load_2addr_b64 v[24:27], v58 offset0:126 offset1:130
	ds_load_2addr_b64 v[28:31], v58 offset0:134 offset1:138
	ds_load_b64 v[60:61], v58 offset:1136
	v_mov_b64_e32 v[58:59], 0
.LBB2_34:                               ;   Parent Loop BB2_25 Depth=1
                                        ;     Parent Loop BB2_28 Depth=2
                                        ;       Parent Loop BB2_30 Depth=3
                                        ;         Parent Loop BB2_31 Depth=4
                                        ;           Parent Loop BB2_32 Depth=5
                                        ;             Parent Loop BB2_33 Depth=6
                                        ; =>            This Inner Loop Header: Depth=7
	v_dual_mov_b32 v66, s25 :: v_dual_mov_b32 v74, s24
	ds_load_b64 v[64:65], v63
	s_add_nc_u64 s[16:17], s[16:17], -1
	s_addk_co_i32 s24, 0xc8
	ds_load_b64 v[66:67], v66
	s_add_co_i32 s25, s25, 32
	s_cmp_lg_u64 s[16:17], 0
	v_add_nc_u32_e32 v63, 32, v63
	s_wait_dscnt 0x0
	v_mul_f64_e32 v[68:69], v[64:65], v[66:67]
	s_delay_alu instid0(VALU_DEP_1) | instskip(NEXT) | instid1(VALU_DEP_1)
	v_mul_f64_e32 v[64:65], v[0:1], v[68:69]
	v_mul_f64_e32 v[70:71], v[16:17], v[64:65]
	s_delay_alu instid0(VALU_DEP_1) | instskip(NEXT) | instid1(VALU_DEP_1)
	v_mul_f64_e32 v[64:65], v[8:9], v[70:71]
	v_mul_f64_e32 v[72:73], v[24:25], v[64:65]
	ds_load_2addr_b64 v[64:67], v74 offset1:1
	s_wait_dscnt 0x0
	v_fmac_f64_e32 v[58:59], v[64:65], v[72:73]
	v_mul_f64_e32 v[64:65], v[10:11], v[70:71]
	s_delay_alu instid0(VALU_DEP_1) | instskip(NEXT) | instid1(VALU_DEP_1)
	v_mul_f64_e32 v[64:65], v[26:27], v[64:65]
	v_fmac_f64_e32 v[58:59], v[66:67], v[64:65]
	v_mul_f64_e32 v[64:65], v[12:13], v[70:71]
	s_delay_alu instid0(VALU_DEP_1)
	v_mul_f64_e32 v[72:73], v[28:29], v[64:65]
	ds_load_2addr_b64 v[64:67], v74 offset0:2 offset1:3
	s_wait_dscnt 0x0
	v_fmac_f64_e32 v[58:59], v[64:65], v[72:73]
	v_mul_f64_e32 v[64:65], v[14:15], v[70:71]
	v_mul_f64_e32 v[70:71], v[48:49], v[70:71]
	s_delay_alu instid0(VALU_DEP_2) | instskip(NEXT) | instid1(VALU_DEP_2)
	v_mul_f64_e32 v[64:65], v[30:31], v[64:65]
	v_mul_f64_e32 v[70:71], v[60:61], v[70:71]
	s_delay_alu instid0(VALU_DEP_2) | instskip(SKIP_4) | instid1(VALU_DEP_1)
	v_fmac_f64_e32 v[58:59], v[66:67], v[64:65]
	ds_load_2addr_b64 v[64:67], v74 offset0:4 offset1:5
	s_wait_dscnt 0x0
	v_fmac_f64_e32 v[58:59], v[70:71], v[64:65]
	v_mul_f64_e32 v[64:65], v[2:3], v[68:69]
	v_mul_f64_e32 v[70:71], v[18:19], v[64:65]
	s_delay_alu instid0(VALU_DEP_1) | instskip(NEXT) | instid1(VALU_DEP_1)
	v_mul_f64_e32 v[64:65], v[8:9], v[70:71]
	v_mul_f64_e32 v[64:65], v[24:25], v[64:65]
	s_delay_alu instid0(VALU_DEP_1) | instskip(SKIP_1) | instid1(VALU_DEP_1)
	v_fmac_f64_e32 v[58:59], v[64:65], v[66:67]
	v_mul_f64_e32 v[64:65], v[10:11], v[70:71]
	v_mul_f64_e32 v[72:73], v[26:27], v[64:65]
	ds_load_2addr_b64 v[64:67], v74 offset0:6 offset1:7
	s_wait_dscnt 0x0
	v_fmac_f64_e32 v[58:59], v[72:73], v[64:65]
	v_mul_f64_e32 v[64:65], v[12:13], v[70:71]
	s_delay_alu instid0(VALU_DEP_1) | instskip(NEXT) | instid1(VALU_DEP_1)
	v_mul_f64_e32 v[64:65], v[28:29], v[64:65]
	v_fmac_f64_e32 v[58:59], v[64:65], v[66:67]
	v_mul_f64_e32 v[64:65], v[14:15], v[70:71]
	s_delay_alu instid0(VALU_DEP_1) | instskip(SKIP_4) | instid1(VALU_DEP_1)
	v_mul_f64_e32 v[72:73], v[30:31], v[64:65]
	ds_load_2addr_b64 v[64:67], v74 offset0:8 offset1:9
	s_wait_dscnt 0x0
	v_fmac_f64_e32 v[58:59], v[72:73], v[64:65]
	v_mul_f64_e32 v[64:65], v[48:49], v[70:71]
	v_mul_f64_e32 v[64:65], v[60:61], v[64:65]
	s_delay_alu instid0(VALU_DEP_1) | instskip(SKIP_1) | instid1(VALU_DEP_1)
	v_fmac_f64_e32 v[58:59], v[64:65], v[66:67]
	v_mul_f64_e32 v[64:65], v[4:5], v[68:69]
	v_mul_f64_e32 v[70:71], v[20:21], v[64:65]
	s_delay_alu instid0(VALU_DEP_1) | instskip(NEXT) | instid1(VALU_DEP_1)
	v_mul_f64_e32 v[64:65], v[8:9], v[70:71]
	v_mul_f64_e32 v[72:73], v[24:25], v[64:65]
	ds_load_2addr_b64 v[64:67], v74 offset0:10 offset1:11
	s_wait_dscnt 0x0
	v_fmac_f64_e32 v[58:59], v[72:73], v[64:65]
	v_mul_f64_e32 v[64:65], v[10:11], v[70:71]
	s_delay_alu instid0(VALU_DEP_1) | instskip(NEXT) | instid1(VALU_DEP_1)
	v_mul_f64_e32 v[64:65], v[26:27], v[64:65]
	v_fmac_f64_e32 v[58:59], v[64:65], v[66:67]
	v_mul_f64_e32 v[64:65], v[12:13], v[70:71]
	s_delay_alu instid0(VALU_DEP_1)
	v_mul_f64_e32 v[72:73], v[28:29], v[64:65]
	ds_load_2addr_b64 v[64:67], v74 offset0:12 offset1:13
	s_wait_dscnt 0x0
	v_fmac_f64_e32 v[58:59], v[72:73], v[64:65]
	v_mul_f64_e32 v[64:65], v[14:15], v[70:71]
	v_mul_f64_e32 v[70:71], v[48:49], v[70:71]
	s_delay_alu instid0(VALU_DEP_2) | instskip(NEXT) | instid1(VALU_DEP_2)
	v_mul_f64_e32 v[64:65], v[30:31], v[64:65]
	v_mul_f64_e32 v[70:71], v[60:61], v[70:71]
	s_delay_alu instid0(VALU_DEP_2)
	v_fmac_f64_e32 v[58:59], v[64:65], v[66:67]
	ds_load_2addr_b64 v[64:67], v74 offset0:14 offset1:15
	s_wait_dscnt 0x0
	v_fmac_f64_e32 v[58:59], v[70:71], v[64:65]
	v_mul_f64_e32 v[64:65], v[6:7], v[68:69]
	v_mul_f64_e32 v[68:69], v[42:43], v[68:69]
	s_delay_alu instid0(VALU_DEP_2) | instskip(NEXT) | instid1(VALU_DEP_2)
	v_mul_f64_e32 v[70:71], v[22:23], v[64:65]
	v_mul_f64_e32 v[68:69], v[54:55], v[68:69]
	s_delay_alu instid0(VALU_DEP_2) | instskip(NEXT) | instid1(VALU_DEP_1)
	v_mul_f64_e32 v[64:65], v[8:9], v[70:71]
	v_mul_f64_e32 v[64:65], v[24:25], v[64:65]
	s_delay_alu instid0(VALU_DEP_1) | instskip(SKIP_1) | instid1(VALU_DEP_1)
	v_fmac_f64_e32 v[58:59], v[64:65], v[66:67]
	v_mul_f64_e32 v[64:65], v[10:11], v[70:71]
	v_mul_f64_e32 v[72:73], v[26:27], v[64:65]
	ds_load_2addr_b64 v[64:67], v74 offset0:16 offset1:17
	s_wait_dscnt 0x0
	v_fmac_f64_e32 v[58:59], v[72:73], v[64:65]
	v_mul_f64_e32 v[64:65], v[12:13], v[70:71]
	s_delay_alu instid0(VALU_DEP_1) | instskip(NEXT) | instid1(VALU_DEP_1)
	v_mul_f64_e32 v[64:65], v[28:29], v[64:65]
	v_fmac_f64_e32 v[58:59], v[64:65], v[66:67]
	v_mul_f64_e32 v[64:65], v[14:15], v[70:71]
	s_delay_alu instid0(VALU_DEP_1)
	v_mul_f64_e32 v[72:73], v[30:31], v[64:65]
	ds_load_2addr_b64 v[64:67], v74 offset0:18 offset1:19
	s_wait_dscnt 0x0
	v_fmac_f64_e32 v[58:59], v[72:73], v[64:65]
	v_mul_f64_e32 v[64:65], v[48:49], v[70:71]
	v_mul_f64_e32 v[70:71], v[8:9], v[68:69]
	s_delay_alu instid0(VALU_DEP_2) | instskip(NEXT) | instid1(VALU_DEP_2)
	v_mul_f64_e32 v[64:65], v[60:61], v[64:65]
	v_mul_f64_e32 v[70:71], v[24:25], v[70:71]
	s_delay_alu instid0(VALU_DEP_2)
	v_fmac_f64_e32 v[58:59], v[64:65], v[66:67]
	ds_load_2addr_b64 v[64:67], v74 offset0:20 offset1:21
	s_wait_dscnt 0x0
	v_fmac_f64_e32 v[58:59], v[70:71], v[64:65]
	v_mul_f64_e32 v[64:65], v[10:11], v[68:69]
	v_mul_f64_e32 v[70:71], v[12:13], v[68:69]
	s_delay_alu instid0(VALU_DEP_2) | instskip(NEXT) | instid1(VALU_DEP_2)
	v_mul_f64_e32 v[64:65], v[26:27], v[64:65]
	v_mul_f64_e32 v[70:71], v[28:29], v[70:71]
	s_delay_alu instid0(VALU_DEP_2)
	v_fmac_f64_e32 v[58:59], v[64:65], v[66:67]
	;; [unrolled: 10-line block ×3, first 2 shown]
	ds_load_b64 v[64:65], v74 offset:192
	s_wait_dscnt 0x0
	v_fmac_f64_e32 v[58:59], v[68:69], v[64:65]
	s_cbranch_scc1 .LBB2_34
; %bb.35:                               ;   in Loop: Header=BB2_33 Depth=6
	s_lshl_b64 s[16:17], s[14:15], 13
	s_add_nc_u64 s[14:15], s[14:15], 1
	v_add_nc_u64_e32 v[24:25], s[16:17], v[56:57]
	s_cmp_eq_u64 s[14:15], 4
	global_store_b64 v[24:25], v[58:59], off
	s_cbranch_scc0 .LBB2_33
; %bb.36:                               ;   in Loop: Header=BB2_32 Depth=5
	s_add_nc_u64 s[10:11], s[10:11], 1
	s_delay_alu instid0(SALU_CYCLE_1)
	s_cmp_eq_u64 s[10:11], 4
	s_cbranch_scc0 .LBB2_32
; %bb.37:                               ;   in Loop: Header=BB2_31 Depth=4
	s_add_nc_u64 s[8:9], s[8:9], 1
	s_add_co_i32 s1, s1, 8
	s_cmp_eq_u64 s[8:9], 4
	s_cbranch_scc0 .LBB2_31
; %bb.38:                               ;   in Loop: Header=BB2_30 Depth=3
	v_add_nc_u64_e32 v[46:47], s[4:5], v[46:47]
	s_delay_alu instid0(VALU_DEP_1)
	v_cmp_lt_u64_e64 s1, 3, v[46:47]
	s_or_b32 s23, s1, s23
	s_wait_xcnt 0x0
	s_and_not1_b32 exec_lo, exec_lo, s23
	s_cbranch_execnz .LBB2_30
	s_branch .LBB2_27
.LBB2_39:
	s_sendmsg sendmsg(MSG_DEALLOC_VGPRS)
	s_endpgm
	.section	.rodata,"a",@progbits
	.p2align	6, 0x0
	.amdhsa_kernel _ZN4RAJA34launch_new_reduce_global_fcn_fixedIZN8rajaperf4apps8MASS3DEA17runHipVariantImplILm64ELm1EEEvNS1_9VariantIDEEUlNS_14LaunchContextTINS_3hip33LaunchContextIndicesAndDimsPolicyINS7_14IndicesAndDimsILb0ELb0ELb1ELb0EEEEEEEE_Li64ENS_4expt15ForallParamPackIJEEEEEvT_T1_
		.amdhsa_group_segment_fixed_size 1168
		.amdhsa_private_segment_fixed_size 0
		.amdhsa_kernarg_size 296
		.amdhsa_user_sgpr_count 2
		.amdhsa_user_sgpr_dispatch_ptr 0
		.amdhsa_user_sgpr_queue_ptr 0
		.amdhsa_user_sgpr_kernarg_segment_ptr 1
		.amdhsa_user_sgpr_dispatch_id 0
		.amdhsa_user_sgpr_kernarg_preload_length 0
		.amdhsa_user_sgpr_kernarg_preload_offset 0
		.amdhsa_user_sgpr_private_segment_size 0
		.amdhsa_wavefront_size32 1
		.amdhsa_uses_dynamic_stack 0
		.amdhsa_enable_private_segment 0
		.amdhsa_system_sgpr_workgroup_id_x 1
		.amdhsa_system_sgpr_workgroup_id_y 0
		.amdhsa_system_sgpr_workgroup_id_z 0
		.amdhsa_system_sgpr_workgroup_info 0
		.amdhsa_system_vgpr_workitem_id 2
		.amdhsa_next_free_vgpr 75
		.amdhsa_next_free_sgpr 26
		.amdhsa_named_barrier_count 0
		.amdhsa_reserve_vcc 1
		.amdhsa_float_round_mode_32 0
		.amdhsa_float_round_mode_16_64 0
		.amdhsa_float_denorm_mode_32 3
		.amdhsa_float_denorm_mode_16_64 3
		.amdhsa_fp16_overflow 0
		.amdhsa_memory_ordered 1
		.amdhsa_forward_progress 1
		.amdhsa_inst_pref_size 16
		.amdhsa_round_robin_scheduling 0
		.amdhsa_exception_fp_ieee_invalid_op 0
		.amdhsa_exception_fp_denorm_src 0
		.amdhsa_exception_fp_ieee_div_zero 0
		.amdhsa_exception_fp_ieee_overflow 0
		.amdhsa_exception_fp_ieee_underflow 0
		.amdhsa_exception_fp_ieee_inexact 0
		.amdhsa_exception_int_div_zero 0
	.end_amdhsa_kernel
	.section	.text._ZN4RAJA34launch_new_reduce_global_fcn_fixedIZN8rajaperf4apps8MASS3DEA17runHipVariantImplILm64ELm1EEEvNS1_9VariantIDEEUlNS_14LaunchContextTINS_3hip33LaunchContextIndicesAndDimsPolicyINS7_14IndicesAndDimsILb0ELb0ELb1ELb0EEEEEEEE_Li64ENS_4expt15ForallParamPackIJEEEEEvT_T1_,"axG",@progbits,_ZN4RAJA34launch_new_reduce_global_fcn_fixedIZN8rajaperf4apps8MASS3DEA17runHipVariantImplILm64ELm1EEEvNS1_9VariantIDEEUlNS_14LaunchContextTINS_3hip33LaunchContextIndicesAndDimsPolicyINS7_14IndicesAndDimsILb0ELb0ELb1ELb0EEEEEEEE_Li64ENS_4expt15ForallParamPackIJEEEEEvT_T1_,comdat
.Lfunc_end2:
	.size	_ZN4RAJA34launch_new_reduce_global_fcn_fixedIZN8rajaperf4apps8MASS3DEA17runHipVariantImplILm64ELm1EEEvNS1_9VariantIDEEUlNS_14LaunchContextTINS_3hip33LaunchContextIndicesAndDimsPolicyINS7_14IndicesAndDimsILb0ELb0ELb1ELb0EEEEEEEE_Li64ENS_4expt15ForallParamPackIJEEEEEvT_T1_, .Lfunc_end2-_ZN4RAJA34launch_new_reduce_global_fcn_fixedIZN8rajaperf4apps8MASS3DEA17runHipVariantImplILm64ELm1EEEvNS1_9VariantIDEEUlNS_14LaunchContextTINS_3hip33LaunchContextIndicesAndDimsPolicyINS7_14IndicesAndDimsILb0ELb0ELb1ELb0EEEEEEEE_Li64ENS_4expt15ForallParamPackIJEEEEEvT_T1_
                                        ; -- End function
	.set _ZN4RAJA34launch_new_reduce_global_fcn_fixedIZN8rajaperf4apps8MASS3DEA17runHipVariantImplILm64ELm1EEEvNS1_9VariantIDEEUlNS_14LaunchContextTINS_3hip33LaunchContextIndicesAndDimsPolicyINS7_14IndicesAndDimsILb0ELb0ELb1ELb0EEEEEEEE_Li64ENS_4expt15ForallParamPackIJEEEEEvT_T1_.num_vgpr, 75
	.set _ZN4RAJA34launch_new_reduce_global_fcn_fixedIZN8rajaperf4apps8MASS3DEA17runHipVariantImplILm64ELm1EEEvNS1_9VariantIDEEUlNS_14LaunchContextTINS_3hip33LaunchContextIndicesAndDimsPolicyINS7_14IndicesAndDimsILb0ELb0ELb1ELb0EEEEEEEE_Li64ENS_4expt15ForallParamPackIJEEEEEvT_T1_.num_agpr, 0
	.set _ZN4RAJA34launch_new_reduce_global_fcn_fixedIZN8rajaperf4apps8MASS3DEA17runHipVariantImplILm64ELm1EEEvNS1_9VariantIDEEUlNS_14LaunchContextTINS_3hip33LaunchContextIndicesAndDimsPolicyINS7_14IndicesAndDimsILb0ELb0ELb1ELb0EEEEEEEE_Li64ENS_4expt15ForallParamPackIJEEEEEvT_T1_.numbered_sgpr, 26
	.set _ZN4RAJA34launch_new_reduce_global_fcn_fixedIZN8rajaperf4apps8MASS3DEA17runHipVariantImplILm64ELm1EEEvNS1_9VariantIDEEUlNS_14LaunchContextTINS_3hip33LaunchContextIndicesAndDimsPolicyINS7_14IndicesAndDimsILb0ELb0ELb1ELb0EEEEEEEE_Li64ENS_4expt15ForallParamPackIJEEEEEvT_T1_.num_named_barrier, 0
	.set _ZN4RAJA34launch_new_reduce_global_fcn_fixedIZN8rajaperf4apps8MASS3DEA17runHipVariantImplILm64ELm1EEEvNS1_9VariantIDEEUlNS_14LaunchContextTINS_3hip33LaunchContextIndicesAndDimsPolicyINS7_14IndicesAndDimsILb0ELb0ELb1ELb0EEEEEEEE_Li64ENS_4expt15ForallParamPackIJEEEEEvT_T1_.private_seg_size, 0
	.set _ZN4RAJA34launch_new_reduce_global_fcn_fixedIZN8rajaperf4apps8MASS3DEA17runHipVariantImplILm64ELm1EEEvNS1_9VariantIDEEUlNS_14LaunchContextTINS_3hip33LaunchContextIndicesAndDimsPolicyINS7_14IndicesAndDimsILb0ELb0ELb1ELb0EEEEEEEE_Li64ENS_4expt15ForallParamPackIJEEEEEvT_T1_.uses_vcc, 1
	.set _ZN4RAJA34launch_new_reduce_global_fcn_fixedIZN8rajaperf4apps8MASS3DEA17runHipVariantImplILm64ELm1EEEvNS1_9VariantIDEEUlNS_14LaunchContextTINS_3hip33LaunchContextIndicesAndDimsPolicyINS7_14IndicesAndDimsILb0ELb0ELb1ELb0EEEEEEEE_Li64ENS_4expt15ForallParamPackIJEEEEEvT_T1_.uses_flat_scratch, 0
	.set _ZN4RAJA34launch_new_reduce_global_fcn_fixedIZN8rajaperf4apps8MASS3DEA17runHipVariantImplILm64ELm1EEEvNS1_9VariantIDEEUlNS_14LaunchContextTINS_3hip33LaunchContextIndicesAndDimsPolicyINS7_14IndicesAndDimsILb0ELb0ELb1ELb0EEEEEEEE_Li64ENS_4expt15ForallParamPackIJEEEEEvT_T1_.has_dyn_sized_stack, 0
	.set _ZN4RAJA34launch_new_reduce_global_fcn_fixedIZN8rajaperf4apps8MASS3DEA17runHipVariantImplILm64ELm1EEEvNS1_9VariantIDEEUlNS_14LaunchContextTINS_3hip33LaunchContextIndicesAndDimsPolicyINS7_14IndicesAndDimsILb0ELb0ELb1ELb0EEEEEEEE_Li64ENS_4expt15ForallParamPackIJEEEEEvT_T1_.has_recursion, 0
	.set _ZN4RAJA34launch_new_reduce_global_fcn_fixedIZN8rajaperf4apps8MASS3DEA17runHipVariantImplILm64ELm1EEEvNS1_9VariantIDEEUlNS_14LaunchContextTINS_3hip33LaunchContextIndicesAndDimsPolicyINS7_14IndicesAndDimsILb0ELb0ELb1ELb0EEEEEEEE_Li64ENS_4expt15ForallParamPackIJEEEEEvT_T1_.has_indirect_call, 0
	.section	.AMDGPU.csdata,"",@progbits
; Kernel info:
; codeLenInByte = 2020
; TotalNumSgprs: 28
; NumVgprs: 75
; ScratchSize: 0
; MemoryBound: 0
; FloatMode: 240
; IeeeMode: 1
; LDSByteSize: 1168 bytes/workgroup (compile time only)
; SGPRBlocks: 0
; VGPRBlocks: 4
; NumSGPRsForWavesPerEU: 28
; NumVGPRsForWavesPerEU: 75
; NamedBarCnt: 0
; Occupancy: 12
; WaveLimiterHint : 0
; COMPUTE_PGM_RSRC2:SCRATCH_EN: 0
; COMPUTE_PGM_RSRC2:USER_SGPR: 2
; COMPUTE_PGM_RSRC2:TRAP_HANDLER: 0
; COMPUTE_PGM_RSRC2:TGID_X_EN: 1
; COMPUTE_PGM_RSRC2:TGID_Y_EN: 0
; COMPUTE_PGM_RSRC2:TGID_Z_EN: 0
; COMPUTE_PGM_RSRC2:TIDIG_COMP_CNT: 2
	.section	.AMDGPU.gpr_maximums,"",@progbits
	.set amdgpu.max_num_vgpr, 0
	.set amdgpu.max_num_agpr, 0
	.set amdgpu.max_num_sgpr, 0
	.section	.AMDGPU.csdata,"",@progbits
	.type	__hip_cuid_e7d3c831782ece70,@object ; @__hip_cuid_e7d3c831782ece70
	.section	.bss,"aw",@nobits
	.globl	__hip_cuid_e7d3c831782ece70
__hip_cuid_e7d3c831782ece70:
	.byte	0                               ; 0x0
	.size	__hip_cuid_e7d3c831782ece70, 1

	.ident	"AMD clang version 22.0.0git (https://github.com/RadeonOpenCompute/llvm-project roc-7.2.4 26084 f58b06dce1f9c15707c5f808fd002e18c2accf7e)"
	.section	".note.GNU-stack","",@progbits
	.addrsig
	.addrsig_sym __hip_cuid_e7d3c831782ece70
	.amdgpu_metadata
---
amdhsa.kernels:
  - .args:
      - .address_space:  global
        .offset:         0
        .size:           8
        .value_kind:     global_buffer
      - .address_space:  global
        .offset:         8
        .size:           8
        .value_kind:     global_buffer
      - .address_space:  global
        .offset:         16
        .size:           8
        .value_kind:     global_buffer
    .group_segment_fixed_size: 1168
    .kernarg_segment_align: 8
    .kernarg_segment_size: 24
    .language:       OpenCL C
    .language_version:
      - 2
      - 0
    .max_flat_workgroup_size: 64
    .name:           _ZN8rajaperf4apps8Mass3DEAILm64EEEvPdS2_S2_
    .private_segment_fixed_size: 0
    .sgpr_count:     15
    .sgpr_spill_count: 0
    .symbol:         _ZN8rajaperf4apps8Mass3DEAILm64EEEvPdS2_S2_.kd
    .uniform_work_group_size: 1
    .uses_dynamic_stack: false
    .vgpr_count:     92
    .vgpr_spill_count: 0
    .wavefront_size: 32
  - .args:
      - .offset:         0
        .size:           32
        .value_kind:     by_value
      - .offset:         32
        .size:           1
        .value_kind:     by_value
    .group_segment_fixed_size: 1168
    .kernarg_segment_align: 8
    .kernarg_segment_size: 36
    .language:       OpenCL C
    .language_version:
      - 2
      - 0
    .max_flat_workgroup_size: 64
    .name:           _ZN4RAJA34launch_new_reduce_global_fcn_fixedIZN8rajaperf4apps8MASS3DEA17runHipVariantImplILm64ELm0EEEvNS1_9VariantIDEEUlNS_14LaunchContextTINS_3hip33LaunchContextIndicesAndDimsPolicyINS7_14IndicesAndDimsILb0ELb0ELb0ELb0EEEEEEEE_Li64ENS_4expt15ForallParamPackIJEEEEEvT_T1_
    .private_segment_fixed_size: 0
    .sgpr_count:     16
    .sgpr_spill_count: 0
    .symbol:         _ZN4RAJA34launch_new_reduce_global_fcn_fixedIZN8rajaperf4apps8MASS3DEA17runHipVariantImplILm64ELm0EEEvNS1_9VariantIDEEUlNS_14LaunchContextTINS_3hip33LaunchContextIndicesAndDimsPolicyINS7_14IndicesAndDimsILb0ELb0ELb0ELb0EEEEEEEE_Li64ENS_4expt15ForallParamPackIJEEEEEvT_T1_.kd
    .uniform_work_group_size: 1
    .uses_dynamic_stack: false
    .vgpr_count:     78
    .vgpr_spill_count: 0
    .wavefront_size: 32
  - .args:
      - .offset:         0
        .size:           32
        .value_kind:     by_value
      - .offset:         32
        .size:           1
        .value_kind:     by_value
      - .offset:         40
        .size:           4
        .value_kind:     hidden_block_count_x
      - .offset:         44
        .size:           4
        .value_kind:     hidden_block_count_y
      - .offset:         48
        .size:           4
        .value_kind:     hidden_block_count_z
      - .offset:         52
        .size:           2
        .value_kind:     hidden_group_size_x
      - .offset:         54
        .size:           2
        .value_kind:     hidden_group_size_y
      - .offset:         56
        .size:           2
        .value_kind:     hidden_group_size_z
      - .offset:         58
        .size:           2
        .value_kind:     hidden_remainder_x
      - .offset:         60
        .size:           2
        .value_kind:     hidden_remainder_y
      - .offset:         62
        .size:           2
        .value_kind:     hidden_remainder_z
      - .offset:         80
        .size:           8
        .value_kind:     hidden_global_offset_x
      - .offset:         88
        .size:           8
        .value_kind:     hidden_global_offset_y
      - .offset:         96
        .size:           8
        .value_kind:     hidden_global_offset_z
      - .offset:         104
        .size:           2
        .value_kind:     hidden_grid_dims
    .group_segment_fixed_size: 1168
    .kernarg_segment_align: 8
    .kernarg_segment_size: 296
    .language:       OpenCL C
    .language_version:
      - 2
      - 0
    .max_flat_workgroup_size: 64
    .name:           _ZN4RAJA34launch_new_reduce_global_fcn_fixedIZN8rajaperf4apps8MASS3DEA17runHipVariantImplILm64ELm1EEEvNS1_9VariantIDEEUlNS_14LaunchContextTINS_3hip33LaunchContextIndicesAndDimsPolicyINS7_14IndicesAndDimsILb0ELb0ELb1ELb0EEEEEEEE_Li64ENS_4expt15ForallParamPackIJEEEEEvT_T1_
    .private_segment_fixed_size: 0
    .sgpr_count:     28
    .sgpr_spill_count: 0
    .symbol:         _ZN4RAJA34launch_new_reduce_global_fcn_fixedIZN8rajaperf4apps8MASS3DEA17runHipVariantImplILm64ELm1EEEvNS1_9VariantIDEEUlNS_14LaunchContextTINS_3hip33LaunchContextIndicesAndDimsPolicyINS7_14IndicesAndDimsILb0ELb0ELb1ELb0EEEEEEEE_Li64ENS_4expt15ForallParamPackIJEEEEEvT_T1_.kd
    .uniform_work_group_size: 1
    .uses_dynamic_stack: false
    .vgpr_count:     75
    .vgpr_spill_count: 0
    .wavefront_size: 32
amdhsa.target:   amdgcn-amd-amdhsa--gfx1250
amdhsa.version:
  - 1
  - 2
...

	.end_amdgpu_metadata
